;; amdgpu-corpus repo=ROCm/rocFFT kind=compiled arch=gfx1030 opt=O3
	.text
	.amdgcn_target "amdgcn-amd-amdhsa--gfx1030"
	.amdhsa_code_object_version 6
	.protected	fft_rtc_back_len2016_factors_2_2_2_2_2_3_3_7_wgs_224_tpt_112_halfLds_half_ip_CI_sbrr_dirReg ; -- Begin function fft_rtc_back_len2016_factors_2_2_2_2_2_3_3_7_wgs_224_tpt_112_halfLds_half_ip_CI_sbrr_dirReg
	.globl	fft_rtc_back_len2016_factors_2_2_2_2_2_3_3_7_wgs_224_tpt_112_halfLds_half_ip_CI_sbrr_dirReg
	.p2align	8
	.type	fft_rtc_back_len2016_factors_2_2_2_2_2_3_3_7_wgs_224_tpt_112_halfLds_half_ip_CI_sbrr_dirReg,@function
fft_rtc_back_len2016_factors_2_2_2_2_2_3_3_7_wgs_224_tpt_112_halfLds_half_ip_CI_sbrr_dirReg: ; @fft_rtc_back_len2016_factors_2_2_2_2_2_3_3_7_wgs_224_tpt_112_halfLds_half_ip_CI_sbrr_dirReg
; %bb.0:
	s_clause 0x2
	s_load_dwordx2 s[14:15], s[4:5], 0x18
	s_load_dwordx4 s[8:11], s[4:5], 0x0
	s_load_dwordx2 s[12:13], s[4:5], 0x50
	v_mul_u32_u24_e32 v1, 0x24a, v0
	v_mov_b32_e32 v3, 0
	v_lshrrev_b32_e32 v9, 16, v1
	v_mov_b32_e32 v1, 0
	v_mov_b32_e32 v6, v3
	v_mov_b32_e32 v2, 0
	v_lshl_add_u32 v5, s6, 1, v9
	s_waitcnt lgkmcnt(0)
	s_load_dwordx2 s[2:3], s[14:15], 0x0
	v_cmp_lt_u64_e64 s0, s[10:11], 2
	s_and_b32 vcc_lo, exec_lo, s0
	s_cbranch_vccnz .LBB0_8
; %bb.1:
	s_load_dwordx2 s[0:1], s[4:5], 0x10
	v_mov_b32_e32 v1, 0
	s_add_u32 s6, s14, 8
	v_mov_b32_e32 v2, 0
	s_addc_u32 s7, s15, 0
	s_mov_b64 s[18:19], 1
	s_waitcnt lgkmcnt(0)
	s_add_u32 s16, s0, 8
	s_addc_u32 s17, s1, 0
.LBB0_2:                                ; =>This Inner Loop Header: Depth=1
	s_load_dwordx2 s[20:21], s[16:17], 0x0
                                        ; implicit-def: $vgpr7_vgpr8
	s_mov_b32 s0, exec_lo
	s_waitcnt lgkmcnt(0)
	v_or_b32_e32 v4, s21, v6
	v_cmpx_ne_u64_e32 0, v[3:4]
	s_xor_b32 s1, exec_lo, s0
	s_cbranch_execz .LBB0_4
; %bb.3:                                ;   in Loop: Header=BB0_2 Depth=1
	v_cvt_f32_u32_e32 v4, s20
	v_cvt_f32_u32_e32 v7, s21
	s_sub_u32 s0, 0, s20
	s_subb_u32 s22, 0, s21
	v_fmac_f32_e32 v4, 0x4f800000, v7
	v_rcp_f32_e32 v4, v4
	v_mul_f32_e32 v4, 0x5f7ffffc, v4
	v_mul_f32_e32 v7, 0x2f800000, v4
	v_trunc_f32_e32 v7, v7
	v_fmac_f32_e32 v4, 0xcf800000, v7
	v_cvt_u32_f32_e32 v7, v7
	v_cvt_u32_f32_e32 v4, v4
	v_mul_lo_u32 v8, s0, v7
	v_mul_hi_u32 v10, s0, v4
	v_mul_lo_u32 v11, s22, v4
	v_add_nc_u32_e32 v8, v10, v8
	v_mul_lo_u32 v10, s0, v4
	v_add_nc_u32_e32 v8, v8, v11
	v_mul_hi_u32 v11, v4, v10
	v_mul_lo_u32 v12, v4, v8
	v_mul_hi_u32 v13, v4, v8
	v_mul_hi_u32 v14, v7, v10
	v_mul_lo_u32 v10, v7, v10
	v_mul_hi_u32 v15, v7, v8
	v_mul_lo_u32 v8, v7, v8
	v_add_co_u32 v11, vcc_lo, v11, v12
	v_add_co_ci_u32_e32 v12, vcc_lo, 0, v13, vcc_lo
	v_add_co_u32 v10, vcc_lo, v11, v10
	v_add_co_ci_u32_e32 v10, vcc_lo, v12, v14, vcc_lo
	v_add_co_ci_u32_e32 v11, vcc_lo, 0, v15, vcc_lo
	v_add_co_u32 v8, vcc_lo, v10, v8
	v_add_co_ci_u32_e32 v10, vcc_lo, 0, v11, vcc_lo
	v_add_co_u32 v4, vcc_lo, v4, v8
	v_add_co_ci_u32_e32 v7, vcc_lo, v7, v10, vcc_lo
	v_mul_hi_u32 v8, s0, v4
	v_mul_lo_u32 v11, s22, v4
	v_mul_lo_u32 v10, s0, v7
	v_add_nc_u32_e32 v8, v8, v10
	v_mul_lo_u32 v10, s0, v4
	v_add_nc_u32_e32 v8, v8, v11
	v_mul_hi_u32 v11, v4, v10
	v_mul_lo_u32 v12, v4, v8
	v_mul_hi_u32 v13, v4, v8
	v_mul_hi_u32 v14, v7, v10
	v_mul_lo_u32 v10, v7, v10
	v_mul_hi_u32 v15, v7, v8
	v_mul_lo_u32 v8, v7, v8
	v_add_co_u32 v11, vcc_lo, v11, v12
	v_add_co_ci_u32_e32 v12, vcc_lo, 0, v13, vcc_lo
	v_add_co_u32 v10, vcc_lo, v11, v10
	v_add_co_ci_u32_e32 v10, vcc_lo, v12, v14, vcc_lo
	v_add_co_ci_u32_e32 v11, vcc_lo, 0, v15, vcc_lo
	v_add_co_u32 v8, vcc_lo, v10, v8
	v_add_co_ci_u32_e32 v10, vcc_lo, 0, v11, vcc_lo
	v_add_co_u32 v4, vcc_lo, v4, v8
	v_add_co_ci_u32_e32 v12, vcc_lo, v7, v10, vcc_lo
	v_mul_hi_u32 v14, v5, v4
	v_mad_u64_u32 v[10:11], null, v6, v4, 0
	v_mad_u64_u32 v[7:8], null, v5, v12, 0
	;; [unrolled: 1-line block ×3, first 2 shown]
	v_add_co_u32 v4, vcc_lo, v14, v7
	v_add_co_ci_u32_e32 v7, vcc_lo, 0, v8, vcc_lo
	v_add_co_u32 v4, vcc_lo, v4, v10
	v_add_co_ci_u32_e32 v4, vcc_lo, v7, v11, vcc_lo
	v_add_co_ci_u32_e32 v7, vcc_lo, 0, v13, vcc_lo
	v_add_co_u32 v4, vcc_lo, v4, v12
	v_add_co_ci_u32_e32 v10, vcc_lo, 0, v7, vcc_lo
	v_mul_lo_u32 v11, s21, v4
	v_mad_u64_u32 v[7:8], null, s20, v4, 0
	v_mul_lo_u32 v12, s20, v10
	v_sub_co_u32 v7, vcc_lo, v5, v7
	v_add3_u32 v8, v8, v12, v11
	v_sub_nc_u32_e32 v11, v6, v8
	v_subrev_co_ci_u32_e64 v11, s0, s21, v11, vcc_lo
	v_add_co_u32 v12, s0, v4, 2
	v_add_co_ci_u32_e64 v13, s0, 0, v10, s0
	v_sub_co_u32 v14, s0, v7, s20
	v_sub_co_ci_u32_e32 v8, vcc_lo, v6, v8, vcc_lo
	v_subrev_co_ci_u32_e64 v11, s0, 0, v11, s0
	v_cmp_le_u32_e32 vcc_lo, s20, v14
	v_cmp_eq_u32_e64 s0, s21, v8
	v_cndmask_b32_e64 v14, 0, -1, vcc_lo
	v_cmp_le_u32_e32 vcc_lo, s21, v11
	v_cndmask_b32_e64 v15, 0, -1, vcc_lo
	v_cmp_le_u32_e32 vcc_lo, s20, v7
	;; [unrolled: 2-line block ×3, first 2 shown]
	v_cndmask_b32_e64 v16, 0, -1, vcc_lo
	v_cmp_eq_u32_e32 vcc_lo, s21, v11
	v_cndmask_b32_e64 v7, v16, v7, s0
	v_cndmask_b32_e32 v11, v15, v14, vcc_lo
	v_add_co_u32 v14, vcc_lo, v4, 1
	v_add_co_ci_u32_e32 v15, vcc_lo, 0, v10, vcc_lo
	v_cmp_ne_u32_e32 vcc_lo, 0, v11
	v_cndmask_b32_e32 v8, v15, v13, vcc_lo
	v_cndmask_b32_e32 v11, v14, v12, vcc_lo
	v_cmp_ne_u32_e32 vcc_lo, 0, v7
	v_cndmask_b32_e32 v8, v10, v8, vcc_lo
	v_cndmask_b32_e32 v7, v4, v11, vcc_lo
.LBB0_4:                                ;   in Loop: Header=BB0_2 Depth=1
	s_andn2_saveexec_b32 s0, s1
	s_cbranch_execz .LBB0_6
; %bb.5:                                ;   in Loop: Header=BB0_2 Depth=1
	v_cvt_f32_u32_e32 v4, s20
	s_sub_i32 s1, 0, s20
	v_rcp_iflag_f32_e32 v4, v4
	v_mul_f32_e32 v4, 0x4f7ffffe, v4
	v_cvt_u32_f32_e32 v4, v4
	v_mul_lo_u32 v7, s1, v4
	v_mul_hi_u32 v7, v4, v7
	v_add_nc_u32_e32 v4, v4, v7
	v_mul_hi_u32 v4, v5, v4
	v_mul_lo_u32 v7, v4, s20
	v_add_nc_u32_e32 v8, 1, v4
	v_sub_nc_u32_e32 v7, v5, v7
	v_subrev_nc_u32_e32 v10, s20, v7
	v_cmp_le_u32_e32 vcc_lo, s20, v7
	v_cndmask_b32_e32 v7, v7, v10, vcc_lo
	v_cndmask_b32_e32 v4, v4, v8, vcc_lo
	v_cmp_le_u32_e32 vcc_lo, s20, v7
	v_add_nc_u32_e32 v8, 1, v4
	v_cndmask_b32_e32 v7, v4, v8, vcc_lo
	v_mov_b32_e32 v8, v3
.LBB0_6:                                ;   in Loop: Header=BB0_2 Depth=1
	s_or_b32 exec_lo, exec_lo, s0
	s_load_dwordx2 s[0:1], s[6:7], 0x0
	v_mul_lo_u32 v4, v8, s20
	v_mul_lo_u32 v12, v7, s21
	v_mad_u64_u32 v[10:11], null, v7, s20, 0
	s_add_u32 s18, s18, 1
	s_addc_u32 s19, s19, 0
	s_add_u32 s6, s6, 8
	s_addc_u32 s7, s7, 0
	s_add_u32 s16, s16, 8
	s_addc_u32 s17, s17, 0
	v_add3_u32 v4, v11, v12, v4
	v_sub_co_u32 v5, vcc_lo, v5, v10
	v_sub_co_ci_u32_e32 v4, vcc_lo, v6, v4, vcc_lo
	s_waitcnt lgkmcnt(0)
	v_mul_lo_u32 v6, s1, v5
	v_mul_lo_u32 v4, s0, v4
	v_mad_u64_u32 v[1:2], null, s0, v5, v[1:2]
	v_cmp_ge_u64_e64 s0, s[18:19], s[10:11]
	s_and_b32 vcc_lo, exec_lo, s0
	v_add3_u32 v2, v6, v2, v4
	s_cbranch_vccnz .LBB0_9
; %bb.7:                                ;   in Loop: Header=BB0_2 Depth=1
	v_mov_b32_e32 v5, v7
	v_mov_b32_e32 v6, v8
	s_branch .LBB0_2
.LBB0_8:
	v_mov_b32_e32 v8, v6
	v_mov_b32_e32 v7, v5
.LBB0_9:
	s_lshl_b64 s[0:1], s[10:11], 3
	v_mul_hi_u32 v3, 0x2492493, v0
	s_add_u32 s0, s14, s0
	s_addc_u32 s1, s15, s1
	s_load_dwordx2 s[4:5], s[4:5], 0x20
	s_load_dwordx2 s[0:1], s[0:1], 0x0
                                        ; implicit-def: $vgpr15
                                        ; implicit-def: $vgpr13
	v_mul_u32_u24_e32 v3, 0x70, v3
	v_sub_nc_u32_e32 v12, v0, v3
	v_add_nc_u32_e32 v14, 0x70, v12
	v_add_nc_u32_e32 v18, 0x150, v12
	v_add_nc_u32_e32 v17, 0x1c0, v12
	v_add_nc_u32_e32 v16, 0x230, v12
	v_add_nc_u32_e32 v19, 0x2a0, v12
	s_waitcnt lgkmcnt(0)
	v_cmp_gt_u64_e32 vcc_lo, s[4:5], v[7:8]
	v_mul_lo_u32 v3, s0, v8
	v_mul_lo_u32 v4, s1, v7
	v_mad_u64_u32 v[0:1], null, s0, v7, v[1:2]
	v_cmp_le_u64_e64 s0, s[4:5], v[7:8]
	v_add_nc_u32_e32 v10, 0x310, v12
	v_or_b32_e32 v11, 0x380, v12
                                        ; implicit-def: $sgpr4
	v_add3_u32 v1, v4, v1, v3
	s_and_saveexec_b32 s1, s0
	s_xor_b32 s0, exec_lo, s1
; %bb.10:
	v_add_nc_u32_e32 v15, 0x70, v12
	v_add_nc_u32_e32 v13, 0xe0, v12
	;; [unrolled: 1-line block ×7, first 2 shown]
	v_or_b32_e32 v11, 0x380, v12
	s_mov_b32 s4, 0
; %bb.11:
	s_or_saveexec_b32 s1, s0
	v_lshlrev_b64 v[4:5], 2, v[0:1]
	v_mov_b32_e32 v2, s4
	v_mov_b32_e32 v33, s4
	;; [unrolled: 1-line block ×9, first 2 shown]
                                        ; implicit-def: $vgpr23
                                        ; implicit-def: $vgpr6
                                        ; implicit-def: $vgpr44
                                        ; implicit-def: $vgpr3
                                        ; implicit-def: $vgpr45
                                        ; implicit-def: $vgpr1
                                        ; implicit-def: $vgpr46
                                        ; implicit-def: $vgpr0
                                        ; implicit-def: $vgpr41
                                        ; implicit-def: $vgpr7
                                        ; implicit-def: $vgpr39
                                        ; implicit-def: $vgpr8
                                        ; implicit-def: $vgpr40
                                        ; implicit-def: $vgpr21
                                        ; implicit-def: $vgpr42
                                        ; implicit-def: $vgpr20
                                        ; implicit-def: $vgpr43
                                        ; implicit-def: $vgpr22
	s_xor_b32 exec_lo, exec_lo, s1
	s_cbranch_execz .LBB0_13
; %bb.12:
	v_add_nc_u32_e32 v13, 0x3f0, v12
	v_mad_u64_u32 v[0:1], null, s2, v12, 0
	v_add_nc_u32_e32 v15, 0x460, v12
	v_add_co_u32 v45, s0, s12, v4
	v_mad_u64_u32 v[2:3], null, s2, v13, 0
	v_mad_u64_u32 v[20:21], null, s2, v15, 0
	v_add_co_ci_u32_e64 v46, s0, s13, v5, s0
	v_mad_u64_u32 v[29:30], null, s2, v18, 0
	v_mad_u64_u32 v[6:7], null, s3, v12, v[1:2]
	v_mov_b32_e32 v1, v3
	v_mad_u64_u32 v[7:8], null, s2, v14, 0
	v_add_nc_u32_e32 v42, 0x620, v12
	v_mad_u64_u32 v[22:23], null, s3, v13, v[1:2]
	v_mov_b32_e32 v1, v6
	v_add_nc_u32_e32 v13, 0xe0, v12
	v_mov_b32_e32 v6, v8
	v_mad_u64_u32 v[40:41], null, s2, v42, 0
	v_lshlrev_b64 v[0:1], 2, v[0:1]
	v_mov_b32_e32 v3, v22
	v_mad_u64_u32 v[22:23], null, s3, v14, v[6:7]
	v_mov_b32_e32 v6, v21
	v_mad_u64_u32 v[23:24], null, s2, v13, 0
	v_lshlrev_b64 v[2:3], 2, v[2:3]
	v_add_co_u32 v0, s0, v45, v0
	v_mov_b32_e32 v8, v22
	v_mad_u64_u32 v[21:22], null, s3, v15, v[6:7]
	v_add_co_ci_u32_e64 v1, s0, v46, v1, s0
	v_lshlrev_b64 v[6:7], 2, v[7:8]
	v_add_nc_u32_e32 v8, 0x4d0, v12
	v_add_co_u32 v25, s0, v45, v2
	v_mov_b32_e32 v2, v24
	v_add_co_ci_u32_e64 v26, s0, v46, v3, s0
	v_mad_u64_u32 v[27:28], null, s2, v8, 0
	v_mad_u64_u32 v[2:3], null, s3, v13, v[2:3]
	v_add_nc_u32_e32 v15, 0x540, v12
	v_add_co_u32 v31, s0, v45, v6
	v_add_co_ci_u32_e64 v32, s0, v46, v7, s0
	v_mov_b32_e32 v3, v28
	v_lshlrev_b64 v[6:7], 2, v[20:21]
	v_mov_b32_e32 v24, v2
	v_mov_b32_e32 v2, v30
	v_mad_u64_u32 v[20:21], null, s3, v8, v[3:4]
	v_mad_u64_u32 v[21:22], null, s2, v15, 0
	;; [unrolled: 1-line block ×3, first 2 shown]
	v_add_co_u32 v34, s0, v45, v6
	v_add_co_ci_u32_e64 v35, s0, v46, v7, s0
	v_lshlrev_b64 v[6:7], 2, v[23:24]
	v_mov_b32_e32 v3, v22
	v_mad_u64_u32 v[23:24], null, s2, v17, 0
	v_mov_b32_e32 v28, v20
	v_mov_b32_e32 v30, v2
	v_mad_u64_u32 v[2:3], null, s3, v15, v[3:4]
	v_add_co_u32 v36, s0, v45, v6
	v_mov_b32_e32 v3, v24
	v_add_nc_u32_e32 v15, 0x5b0, v12
	v_add_co_ci_u32_e64 v37, s0, v46, v7, s0
	v_lshlrev_b64 v[6:7], 2, v[27:28]
	v_lshlrev_b64 v[27:28], 2, v[29:30]
	v_mov_b32_e32 v22, v2
	v_mad_u64_u32 v[2:3], null, s3, v17, v[3:4]
	v_mad_u64_u32 v[29:30], null, s2, v15, 0
	v_add_co_u32 v38, s0, v45, v6
	v_add_co_ci_u32_e64 v39, s0, v46, v7, s0
	v_lshlrev_b64 v[6:7], 2, v[21:22]
	v_add_co_u32 v20, s0, v45, v27
	v_mov_b32_e32 v24, v2
	v_mov_b32_e32 v2, v30
	v_add_co_ci_u32_e64 v21, s0, v46, v28, s0
	v_add_co_u32 v27, s0, v45, v6
	v_add_co_ci_u32_e64 v28, s0, v46, v7, s0
	v_lshlrev_b64 v[7:8], 2, v[23:24]
	v_mad_u64_u32 v[22:23], null, s3, v15, v[2:3]
	v_mad_u64_u32 v[23:24], null, s2, v16, 0
	s_clause 0x7
	global_load_dword v2, v[0:1], off
	global_load_dword v6, v[25:26], off
	;; [unrolled: 1-line block ×8, first 2 shown]
	v_add_co_u32 v25, s0, v45, v7
	v_mov_b32_e32 v7, v41
	v_mov_b32_e32 v30, v22
	v_add_co_ci_u32_e64 v26, s0, v46, v8, s0
	v_mov_b32_e32 v15, v24
	v_mad_u64_u32 v[7:8], null, s3, v42, v[7:8]
	v_lshlrev_b64 v[20:21], 2, v[29:30]
	v_add_nc_u32_e32 v38, 0x770, v12
	v_mad_u64_u32 v[27:28], null, s3, v16, v[15:16]
	v_mad_u64_u32 v[28:29], null, s2, v19, 0
	v_add_nc_u32_e32 v15, 0x690, v12
	v_add_co_u32 v20, s0, v45, v20
	v_add_co_ci_u32_e64 v21, s0, v46, v21, s0
	v_mad_u64_u32 v[34:35], null, s2, v15, 0
	v_mov_b32_e32 v8, v29
	v_mov_b32_e32 v24, v27
	v_mov_b32_e32 v41, v7
	global_load_dword v7, v[20:21], off
	v_mad_u64_u32 v[29:30], null, s3, v19, v[8:9]
	v_mov_b32_e32 v8, v35
	v_lshlrev_b64 v[22:23], 2, v[23:24]
	v_or_b32_e32 v24, 0x700, v12
	v_lshlrev_b64 v[20:21], 2, v[40:41]
	v_mad_u64_u32 v[41:42], null, s2, v38, 0
	v_mad_u64_u32 v[35:36], null, s3, v15, v[8:9]
	;; [unrolled: 1-line block ×3, first 2 shown]
	v_add_co_u32 v20, s0, v45, v20
	v_add_co_ci_u32_e64 v21, s0, v46, v21, s0
	v_add_co_u32 v39, s0, v45, v22
	v_mov_b32_e32 v15, v37
	v_add_co_ci_u32_e64 v40, s0, v46, v23, s0
	v_mad_u64_u32 v[22:23], null, s2, v10, 0
	global_load_dword v8, v[20:21], off
	v_lshlrev_b64 v[20:21], 2, v[28:29]
	v_mad_u64_u32 v[27:28], null, s3, v24, v[15:16]
	v_mad_u64_u32 v[28:29], null, s2, v11, 0
	v_mov_b32_e32 v15, v23
	v_mov_b32_e32 v23, v42
	v_add_co_u32 v43, s0, v45, v20
	v_mov_b32_e32 v37, v27
	v_add_co_ci_u32_e64 v44, s0, v46, v21, s0
	v_lshlrev_b64 v[20:21], 2, v[34:35]
	v_mad_u64_u32 v[34:35], null, s3, v10, v[15:16]
	v_mov_b32_e32 v15, v29
	v_lshlrev_b64 v[29:30], 2, v[36:37]
	v_mad_u64_u32 v[35:36], null, s3, v38, v[23:24]
	v_add_co_u32 v20, s0, v45, v20
	v_mad_u64_u32 v[36:37], null, s3, v11, v[15:16]
	v_add_co_ci_u32_e64 v21, s0, v46, v21, s0
	v_mov_b32_e32 v42, v35
	v_mov_b32_e32 v23, v34
	v_add_co_u32 v34, s0, v45, v29
	v_mov_b32_e32 v29, v36
	v_lshlrev_b64 v[36:37], 2, v[41:42]
	v_add_co_ci_u32_e64 v35, s0, v46, v30, s0
	v_lshlrev_b64 v[23:24], 2, v[22:23]
	v_lshlrev_b64 v[27:28], 2, v[28:29]
	global_load_dword v21, v[20:21], off
	v_add_co_u32 v29, s0, v45, v36
	v_add_co_ci_u32_e64 v30, s0, v46, v37, s0
	v_add_co_u32 v27, s0, v45, v27
	v_add_co_ci_u32_e64 v28, s0, v46, v28, s0
	global_load_dword v22, v[29:30], off
	v_add_co_u32 v23, s0, v45, v23
	global_load_dword v20, v[34:35], off
	v_add_co_ci_u32_e64 v24, s0, v46, v24, s0
	s_clause 0x4
	global_load_dword v38, v[25:26], off
	global_load_dword v34, v[39:40], off
	;; [unrolled: 1-line block ×5, first 2 shown]
	v_mov_b32_e32 v15, v14
	s_waitcnt vmcnt(16)
	v_lshrrev_b32_e32 v23, 16, v6
	s_waitcnt vmcnt(14)
	v_lshrrev_b32_e32 v44, 16, v3
	;; [unrolled: 2-line block ×9, first 2 shown]
.LBB0_13:
	s_or_b32 exec_lo, exec_lo, s1
	v_and_b32_e32 v9, 1, v9
	v_lshrrev_b32_e32 v24, 16, v2
	v_sub_f16_e32 v6, v2, v6
	v_sub_f16_e32 v3, v33, v3
	;; [unrolled: 1-line block ×3, first 2 shown]
	v_cmp_eq_u32_e64 s0, 1, v9
	v_sub_f16_e32 v47, v24, v23
	v_sub_f16_e32 v25, v31, v0
	v_fma_f16 v2, v2, 2.0, -v6
	s_waitcnt vmcnt(4)
	v_sub_f16_e32 v7, v38, v7
	v_cndmask_b32_e64 v23, 0, 0xfc0, s0
	v_fma_f16 v48, v24, 2.0, -v47
	v_fma_f16 v9, v33, 2.0, -v3
	v_fma_f16 v24, v32, 2.0, -v1
	s_waitcnt vmcnt(3)
	v_sub_f16_e32 v8, v34, v8
	s_waitcnt vmcnt(2)
	v_sub_f16_e32 v21, v35, v21
	v_add_nc_u32_e32 v30, 0, v23
	v_fma_f16 v26, v31, 2.0, -v25
	v_fma_f16 v27, v38, 2.0, -v7
	s_waitcnt vmcnt(0)
	v_sub_f16_e32 v20, v37, v20
	v_sub_f16_e32 v22, v36, v22
	v_fma_f16 v28, v34, 2.0, -v8
	v_fma_f16 v29, v35, 2.0, -v21
	v_lshl_add_u32 v51, v12, 2, v30
	v_pack_b32_f16 v2, v2, v6
	v_lshl_add_u32 v52, v15, 2, v30
	v_pack_b32_f16 v3, v9, v3
	;; [unrolled: 2-line block ×3, first 2 shown]
	v_lshrrev_b32_e32 v33, 16, v33
	v_lshrrev_b32_e32 v32, 16, v32
	v_lshrrev_b32_e32 v31, 16, v31
	v_fma_f16 v49, v37, 2.0, -v20
	v_fma_f16 v50, v36, 2.0, -v22
	ds_write_b32 v51, v2
	ds_write_b32 v52, v3
	;; [unrolled: 1-line block ×3, first 2 shown]
	v_lshl_add_u32 v54, v18, 2, v30
	v_pack_b32_f16 v6, v26, v25
	v_lshl_add_u32 v55, v17, 2, v30
	v_pack_b32_f16 v7, v27, v7
	;; [unrolled: 2-line block ×4, first 2 shown]
	v_sub_f16_e32 v44, v33, v44
	v_sub_f16_e32 v45, v32, v45
	;; [unrolled: 1-line block ×3, first 2 shown]
	v_lshlrev_b32_e32 v0, 1, v12
	v_lshlrev_b32_e32 v2, 1, v13
	;; [unrolled: 1-line block ×3, first 2 shown]
	ds_write_b32 v54, v6
	ds_write_b32 v55, v7
	;; [unrolled: 1-line block ×3, first 2 shown]
	v_lshlrev_b32_e32 v8, 1, v19
	v_lshl_add_u32 v58, v10, 2, v30
	v_pack_b32_f16 v19, v49, v20
	v_lshl_add_u32 v49, v11, 2, v30
	v_pack_b32_f16 v20, v50, v22
	ds_write_b32 v57, v9
	v_lshlrev_b32_e32 v9, 1, v10
	v_lshlrev_b32_e32 v1, 1, v15
	v_lshlrev_b32_e32 v6, 1, v17
	v_lshlrev_b32_e32 v10, 1, v11
	v_fma_f16 v33, v33, 2.0, -v44
	v_lshlrev_b32_e32 v7, 1, v16
	v_fma_f16 v32, v32, 2.0, -v45
	v_fma_f16 v31, v31, 2.0, -v46
	ds_write_b32 v58, v19
	ds_write_b32 v49, v20
	v_add_nc_u32_e32 v22, v30, v0
	v_add_nc_u32_e32 v24, v30, v3
	v_add_nc_u32_e32 v20, v30, v2
	v_sub_nc_u32_e32 v28, v58, v9
	v_pack_b32_f16 v47, v48, v47
	v_lshrrev_b32_e32 v38, 16, v38
	v_add3_u32 v19, 0, v0, v23
	v_add_nc_u32_e32 v21, v30, v1
	v_sub_nc_u32_e32 v25, v55, v6
	v_sub_nc_u32_e32 v29, v49, v10
	v_pack_b32_f16 v33, v33, v44
	v_sub_nc_u32_e32 v26, v56, v7
	v_pack_b32_f16 v32, v32, v45
	;; [unrolled: 2-line block ×3, first 2 shown]
	s_waitcnt lgkmcnt(0)
	s_barrier
	buffer_gl0_inv
	ds_read_u16 v11, v24
	ds_read_u16 v50, v25
	;; [unrolled: 1-line block ×5, first 2 shown]
	ds_read_u16 v61, v19 offset:2016
	ds_read_u16 v62, v19 offset:2240
	;; [unrolled: 1-line block ×8, first 2 shown]
	ds_read_u16 v69, v28
	ds_read_u16 v70, v29
	;; [unrolled: 1-line block ×4, first 2 shown]
	ds_read_u16 v73, v19 offset:3808
	s_waitcnt lgkmcnt(0)
	s_barrier
	buffer_gl0_inv
	ds_write_b32 v51, v47
	ds_write_b32 v52, v33
	ds_write_b32 v53, v32
	ds_write_b32 v54, v31
	v_sub_f16_e32 v31, v38, v41
	v_lshrrev_b32_e32 v32, 16, v34
	v_lshrrev_b32_e32 v33, 16, v35
	;; [unrolled: 1-line block ×4, first 2 shown]
	v_fma_f16 v36, v38, 2.0, -v31
	v_sub_f16_e32 v37, v32, v39
	v_sub_f16_e32 v38, v33, v40
	;; [unrolled: 1-line block ×4, first 2 shown]
	v_pack_b32_f16 v31, v36, v31
	v_fma_f16 v32, v32, 2.0, -v37
	v_fma_f16 v33, v33, 2.0, -v38
	;; [unrolled: 1-line block ×4, first 2 shown]
	ds_write_b32 v55, v31
	v_pack_b32_f16 v31, v32, v37
	v_pack_b32_f16 v32, v33, v38
	;; [unrolled: 1-line block ×3, first 2 shown]
	v_and_b32_e32 v34, 1, v12
	v_pack_b32_f16 v35, v35, v40
	ds_write_b32 v56, v31
	ds_write_b32 v57, v32
	;; [unrolled: 1-line block ×3, first 2 shown]
	v_and_b32_e32 v32, 3, v12
	v_cmp_gt_u32_e64 s0, 0x60, v12
	v_lshlrev_b32_e32 v31, 2, v34
	ds_write_b32 v49, v35
	s_waitcnt lgkmcnt(0)
	s_barrier
	buffer_gl0_inv
	global_load_dword v31, v31, s[8:9]
	ds_read_u16 v43, v19 offset:2016
	ds_read_u16 v44, v19 offset:2240
	ds_read_u16 v45, v19 offset:2464
	ds_read_u16 v46, v19 offset:2688
	ds_read_u16 v47, v19 offset:2912
	ds_read_u16 v49, v19 offset:3136
	ds_read_u16 v51, v19 offset:3360
	ds_read_u16 v52, v24
	ds_read_u16 v53, v25
	;; [unrolled: 1-line block ×4, first 2 shown]
	ds_read_u16 v56, v19 offset:3584
	ds_read_u16 v57, v19 offset:3808
	ds_read_u16 v58, v20
	ds_read_u16 v74, v21
	;; [unrolled: 1-line block ×5, first 2 shown]
	v_and_or_b32 v33, 0xfc, v0, v34
	v_and_or_b32 v35, 0x1fc, v1, v34
	;; [unrolled: 1-line block ×5, first 2 shown]
	v_lshl_add_u32 v33, v33, 1, v30
	v_and_or_b32 v39, 0x5fc, v7, v34
	v_and_or_b32 v40, 0x7fc, v8, v34
	;; [unrolled: 1-line block ×4, first 2 shown]
	v_lshlrev_b32_e32 v42, 2, v32
	s_waitcnt vmcnt(0) lgkmcnt(0)
	s_barrier
	buffer_gl0_inv
	v_lshl_add_u32 v35, v35, 1, v30
	v_lshl_add_u32 v36, v36, 1, v30
	;; [unrolled: 1-line block ×8, first 2 shown]
	v_mul_f16_sdwa v78, v43, v31 dst_sel:DWORD dst_unused:UNUSED_PAD src0_sel:DWORD src1_sel:WORD_1
	v_mul_f16_sdwa v79, v61, v31 dst_sel:DWORD dst_unused:UNUSED_PAD src0_sel:DWORD src1_sel:WORD_1
	;; [unrolled: 1-line block ×17, first 2 shown]
	v_fmac_f16_e32 v78, v61, v31
	v_mul_f16_sdwa v61, v73, v31 dst_sel:DWORD dst_unused:UNUSED_PAD src0_sel:DWORD src1_sel:WORD_1
	v_fma_f16 v43, v43, v31, -v79
	v_fmac_f16_e32 v80, v62, v31
	v_fma_f16 v44, v44, v31, -v81
	v_fmac_f16_e32 v82, v63, v31
	;; [unrolled: 2-line block ×3, first 2 shown]
	v_fmac_f16_e32 v86, v65, v31
	v_fmac_f16_e32 v88, v66, v31
	;; [unrolled: 1-line block ×5, first 2 shown]
	v_fma_f16 v46, v46, v31, -v85
	v_fma_f16 v47, v47, v31, -v87
	;; [unrolled: 1-line block ×6, first 2 shown]
	v_sub_f16_e32 v57, v48, v78
	v_sub_f16_e32 v61, v72, v80
	;; [unrolled: 1-line block ×18, first 2 shown]
	v_fma_f16 v48, v48, 2.0, -v57
	ds_write_b16 v33, v57 offset:4
	v_fma_f16 v57, v72, 2.0, -v61
	v_fma_f16 v72, v75, 2.0, -v43
	v_fma_f16 v73, v74, 2.0, -v44
	v_fma_f16 v71, v71, 2.0, -v62
	v_fma_f16 v11, v11, 2.0, -v63
	v_fma_f16 v50, v50, 2.0, -v64
	v_fma_f16 v59, v59, 2.0, -v65
	v_fma_f16 v60, v60, 2.0, -v66
	v_fma_f16 v69, v69, 2.0, -v67
	v_fma_f16 v70, v70, 2.0, -v68
	v_fma_f16 v58, v58, 2.0, -v45
	v_fma_f16 v52, v52, 2.0, -v46
	v_fma_f16 v53, v53, 2.0, -v47
	v_fma_f16 v54, v54, 2.0, -v49
	v_fma_f16 v55, v55, 2.0, -v51
	v_fma_f16 v74, v76, 2.0, -v56
	v_fma_f16 v75, v77, 2.0, -v31
	ds_write_b16 v33, v48
	ds_write_b16 v35, v57
	ds_write_b16 v35, v61 offset:4
	ds_write_b16 v36, v71
	ds_write_b16 v36, v62 offset:4
	;; [unrolled: 2-line block ×8, first 2 shown]
	s_waitcnt lgkmcnt(0)
	s_barrier
	buffer_gl0_inv
	ds_read_u16 v11, v24
	ds_read_u16 v48, v25
	;; [unrolled: 1-line block ×5, first 2 shown]
	ds_read_u16 v60, v19 offset:2016
	ds_read_u16 v61, v19 offset:2240
	;; [unrolled: 1-line block ×8, first 2 shown]
	ds_read_u16 v68, v28
	ds_read_u16 v69, v29
	;; [unrolled: 1-line block ×4, first 2 shown]
	ds_read_u16 v76, v19 offset:3808
	s_waitcnt lgkmcnt(0)
	s_barrier
	buffer_gl0_inv
	ds_write_b16 v33, v72
	ds_write_b16 v33, v43 offset:4
	ds_write_b16 v35, v73
	ds_write_b16 v35, v44 offset:4
	;; [unrolled: 2-line block ×9, first 2 shown]
	s_waitcnt lgkmcnt(0)
	s_barrier
	buffer_gl0_inv
	global_load_dword v31, v42, s[8:9] offset:8
	ds_read_u16 v43, v19 offset:2016
	ds_read_u16 v44, v19 offset:2240
	;; [unrolled: 1-line block ×7, first 2 shown]
	ds_read_u16 v52, v24
	ds_read_u16 v53, v25
	;; [unrolled: 1-line block ×4, first 2 shown]
	ds_read_u16 v56, v19 offset:3584
	ds_read_u16 v58, v19 offset:3808
	ds_read_u16 v72, v20
	ds_read_u16 v73, v21
	;; [unrolled: 1-line block ×5, first 2 shown]
	v_and_or_b32 v34, 0xf8, v0, v32
	v_and_b32_e32 v33, 7, v12
	v_and_or_b32 v35, 0x1f8, v1, v32
	v_and_or_b32 v36, 0x3f8, v2, v32
	v_and_or_b32 v37, 0x3f8, v3, v32
	v_lshl_add_u32 v34, v34, 1, v30
	v_and_or_b32 v38, 0x7f8, v6, v32
	v_and_or_b32 v39, 0x5f8, v7, v32
	;; [unrolled: 1-line block ×5, first 2 shown]
	v_lshlrev_b32_e32 v42, 2, v33
	s_waitcnt vmcnt(0) lgkmcnt(0)
	s_barrier
	buffer_gl0_inv
	v_lshl_add_u32 v35, v35, 1, v30
	v_lshl_add_u32 v36, v36, 1, v30
	;; [unrolled: 1-line block ×8, first 2 shown]
	v_mul_f16_sdwa v78, v43, v31 dst_sel:DWORD dst_unused:UNUSED_PAD src0_sel:DWORD src1_sel:WORD_1
	v_mul_f16_sdwa v79, v60, v31 dst_sel:DWORD dst_unused:UNUSED_PAD src0_sel:DWORD src1_sel:WORD_1
	;; [unrolled: 1-line block ×17, first 2 shown]
	v_fmac_f16_e32 v78, v60, v31
	v_mul_f16_sdwa v60, v76, v31 dst_sel:DWORD dst_unused:UNUSED_PAD src0_sel:DWORD src1_sel:WORD_1
	v_fma_f16 v43, v43, v31, -v79
	v_fmac_f16_e32 v80, v61, v31
	v_fma_f16 v44, v44, v31, -v81
	v_fmac_f16_e32 v82, v62, v31
	;; [unrolled: 2-line block ×3, first 2 shown]
	v_fmac_f16_e32 v88, v65, v31
	v_fmac_f16_e32 v90, v66, v31
	;; [unrolled: 1-line block ×5, first 2 shown]
	v_fma_f16 v46, v46, v31, -v85
	v_fma_f16 v47, v47, v31, -v87
	;; [unrolled: 1-line block ×6, first 2 shown]
	v_sub_f16_e32 v58, v59, v78
	v_sub_f16_e32 v60, v71, v80
	;; [unrolled: 1-line block ×18, first 2 shown]
	v_fma_f16 v59, v59, 2.0, -v58
	ds_write_b16 v34, v58 offset:8
	v_fma_f16 v58, v71, 2.0, -v60
	v_fma_f16 v71, v74, 2.0, -v43
	;; [unrolled: 1-line block ×17, first 2 shown]
	ds_write_b16 v34, v59
	ds_write_b16 v35, v58
	ds_write_b16 v35, v60 offset:8
	ds_write_b16 v36, v70
	ds_write_b16 v36, v61 offset:8
	ds_write_b16 v37, v11
	ds_write_b16 v37, v62 offset:8
	ds_write_b16 v38, v48
	ds_write_b16 v38, v63 offset:8
	ds_write_b16 v39, v50
	ds_write_b16 v39, v64 offset:8
	ds_write_b16 v40, v57
	ds_write_b16 v40, v65 offset:8
	ds_write_b16 v41, v68
	ds_write_b16 v41, v66 offset:8
	ds_write_b16 v32, v69
	ds_write_b16 v32, v67 offset:8
	s_waitcnt lgkmcnt(0)
	s_barrier
	buffer_gl0_inv
	ds_read_u16 v48, v24
	ds_read_u16 v50, v25
	;; [unrolled: 1-line block ×5, first 2 shown]
	ds_read_u16 v60, v19 offset:2016
	ds_read_u16 v61, v19 offset:2240
	ds_read_u16 v62, v19 offset:2464
	ds_read_u16 v63, v19 offset:2688
	ds_read_u16 v64, v19 offset:2912
	ds_read_u16 v65, v19 offset:3136
	ds_read_u16 v66, v19 offset:3360
	ds_read_u16 v67, v19 offset:3584
	ds_read_u16 v68, v28
	ds_read_u16 v69, v29
	;; [unrolled: 1-line block ×4, first 2 shown]
	ds_read_u16 v77, v19 offset:3808
	s_waitcnt lgkmcnt(0)
	s_barrier
	buffer_gl0_inv
	ds_write_b16 v34, v71
	ds_write_b16 v34, v43 offset:8
	ds_write_b16 v35, v73
	ds_write_b16 v35, v44 offset:8
	;; [unrolled: 2-line block ×9, first 2 shown]
	s_waitcnt lgkmcnt(0)
	s_barrier
	buffer_gl0_inv
	global_load_dword v31, v42, s[8:9] offset:24
	ds_read_u16 v42, v19 offset:2016
	ds_read_u16 v43, v19 offset:2240
	;; [unrolled: 1-line block ×7, first 2 shown]
	ds_read_u16 v51, v24
	ds_read_u16 v52, v25
	;; [unrolled: 1-line block ×4, first 2 shown]
	ds_read_u16 v55, v19 offset:3584
	ds_read_u16 v56, v19 offset:3808
	ds_read_u16 v71, v20
	ds_read_u16 v72, v21
	;; [unrolled: 1-line block ×5, first 2 shown]
	v_and_or_b32 v32, 0xf0, v0, v33
	v_and_b32_e32 v11, 15, v12
	v_and_or_b32 v34, 0x1f0, v1, v33
	v_and_or_b32 v35, 0x3f0, v2, v33
	;; [unrolled: 1-line block ×3, first 2 shown]
	v_lshl_add_u32 v32, v32, 1, v30
	v_and_or_b32 v37, 0x7f0, v6, v33
	v_and_or_b32 v38, 0x5f0, v7, v33
	v_and_or_b32 v39, 0x7f0, v8, v33
	v_and_or_b32 v40, 0x7f0, v9, v33
	v_and_or_b32 v33, 0x7f0, v10, v33
	v_lshlrev_b32_e32 v41, 2, v11
	v_lshl_add_u32 v34, v34, 1, v30
	s_waitcnt vmcnt(0) lgkmcnt(0)
	s_barrier
	buffer_gl0_inv
	v_lshl_add_u32 v35, v35, 1, v30
	v_lshl_add_u32 v33, v33, 1, v30
	;; [unrolled: 1-line block ×7, first 2 shown]
	v_and_or_b32 v0, 0xe0, v0, v11
	v_and_or_b32 v1, 0x1e0, v1, v11
	;; [unrolled: 1-line block ×9, first 2 shown]
	v_lshl_add_u32 v0, v0, 1, v30
	v_lshl_add_u32 v1, v1, 1, v30
	;; [unrolled: 1-line block ×9, first 2 shown]
	v_mul_f16_sdwa v78, v42, v31 dst_sel:DWORD dst_unused:UNUSED_PAD src0_sel:DWORD src1_sel:WORD_1
	v_mul_f16_sdwa v79, v60, v31 dst_sel:DWORD dst_unused:UNUSED_PAD src0_sel:DWORD src1_sel:WORD_1
	;; [unrolled: 1-line block ×17, first 2 shown]
	v_fmac_f16_e32 v78, v60, v31
	v_mul_f16_sdwa v60, v77, v31 dst_sel:DWORD dst_unused:UNUSED_PAD src0_sel:DWORD src1_sel:WORD_1
	v_fma_f16 v42, v42, v31, -v79
	v_fmac_f16_e32 v80, v61, v31
	v_fma_f16 v43, v43, v31, -v81
	v_fmac_f16_e32 v82, v62, v31
	;; [unrolled: 2-line block ×3, first 2 shown]
	v_fmac_f16_e32 v86, v64, v31
	v_fmac_f16_e32 v88, v65, v31
	;; [unrolled: 1-line block ×5, first 2 shown]
	v_fma_f16 v45, v45, v31, -v85
	v_fma_f16 v46, v46, v31, -v87
	;; [unrolled: 1-line block ×6, first 2 shown]
	v_sub_f16_e32 v56, v59, v78
	v_sub_f16_e32 v42, v73, v42
	;; [unrolled: 1-line block ×18, first 2 shown]
	v_fma_f16 v59, v59, 2.0, -v56
	v_fma_f16 v73, v73, 2.0, -v42
	ds_write_b16 v32, v56 offset:16
	v_fma_f16 v56, v76, 2.0, -v60
	v_fma_f16 v72, v72, 2.0, -v43
	;; [unrolled: 1-line block ×16, first 2 shown]
	ds_write_b16 v32, v59
	ds_write_b16 v34, v56
	ds_write_b16 v34, v60 offset:16
	ds_write_b16 v35, v70
	ds_write_b16 v35, v61 offset:16
	;; [unrolled: 2-line block ×8, first 2 shown]
	s_waitcnt lgkmcnt(0)
	s_barrier
	buffer_gl0_inv
	ds_read_u16 v48, v24
	ds_read_u16 v50, v25
	;; [unrolled: 1-line block ×5, first 2 shown]
	ds_read_u16 v59, v19 offset:2016
	ds_read_u16 v60, v19 offset:2240
	;; [unrolled: 1-line block ×8, first 2 shown]
	ds_read_u16 v67, v28
	ds_read_u16 v68, v29
	;; [unrolled: 1-line block ×4, first 2 shown]
	ds_read_u16 v76, v19 offset:3808
	s_waitcnt lgkmcnt(0)
	s_barrier
	buffer_gl0_inv
	ds_write_b16 v32, v73
	ds_write_b16 v32, v42 offset:16
	ds_write_b16 v34, v72
	ds_write_b16 v34, v43 offset:16
	;; [unrolled: 2-line block ×9, first 2 shown]
	s_waitcnt lgkmcnt(0)
	s_barrier
	buffer_gl0_inv
	global_load_dword v33, v41, s[8:9] offset:56
	ds_read_u16 v34, v19 offset:2016
	ds_read_u16 v35, v19 offset:2240
	;; [unrolled: 1-line block ×7, first 2 shown]
	ds_read_u16 v43, v24
	ds_read_u16 v44, v25
	;; [unrolled: 1-line block ×4, first 2 shown]
	ds_read_u16 v47, v19 offset:3584
	ds_read_u16 v49, v19 offset:3808
	ds_read_u16 v51, v20
	ds_read_u16 v52, v21
	;; [unrolled: 1-line block ×5, first 2 shown]
	v_and_b32_e32 v31, 31, v15
	v_and_b32_e32 v32, 31, v18
	;; [unrolled: 1-line block ×4, first 2 shown]
	s_waitcnt vmcnt(0) lgkmcnt(0)
	v_lshlrev_b32_e32 v11, 3, v31
	v_lshlrev_b32_e32 v53, 3, v32
	s_barrier
	buffer_gl0_inv
	v_mul_f16_sdwa v72, v34, v33 dst_sel:DWORD dst_unused:UNUSED_PAD src0_sel:DWORD src1_sel:WORD_1
	v_mul_f16_sdwa v73, v59, v33 dst_sel:DWORD dst_unused:UNUSED_PAD src0_sel:DWORD src1_sel:WORD_1
	;; [unrolled: 1-line block ×18, first 2 shown]
	v_fmac_f16_e32 v72, v59, v33
	v_fma_f16 v34, v34, v33, -v73
	v_fmac_f16_e32 v74, v60, v33
	v_fma_f16 v35, v35, v33, -v75
	v_fmac_f16_e32 v83, v64, v33
	v_fmac_f16_e32 v77, v61, v33
	v_fma_f16 v36, v36, v33, -v78
	v_fmac_f16_e32 v79, v62, v33
	v_fmac_f16_e32 v81, v63, v33
	v_fmac_f16_e32 v85, v65, v33
	v_fmac_f16_e32 v87, v66, v33
	v_fmac_f16_e32 v89, v76, v33
	v_fma_f16 v37, v37, v33, -v80
	v_fma_f16 v39, v39, v33, -v82
	;; [unrolled: 1-line block ×6, first 2 shown]
	v_sub_f16_e32 v49, v58, v72
	v_sub_f16_e32 v60, v54, v34
	;; [unrolled: 1-line block ×18, first 2 shown]
	v_fma_f16 v33, v58, 2.0, -v49
	v_fma_f16 v54, v54, 2.0, -v60
	;; [unrolled: 1-line block ×12, first 2 shown]
	ds_write_b16 v0, v49 offset:32
	v_fma_f16 v58, v43, 2.0, -v74
	v_fma_f16 v67, v44, 2.0, -v75
	;; [unrolled: 1-line block ×6, first 2 shown]
	ds_write_b16 v0, v33
	ds_write_b16 v1, v35
	ds_write_b16 v1, v59 offset:32
	ds_write_b16 v2, v36
	ds_write_b16 v2, v34 offset:32
	ds_write_b16 v3, v37
	ds_write_b16 v3, v61 offset:32
	ds_write_b16 v6, v39
	ds_write_b16 v6, v62 offset:32
	ds_write_b16 v7, v41
	ds_write_b16 v7, v63 offset:32
	ds_write_b16 v8, v42
	ds_write_b16 v8, v64 offset:32
	ds_write_b16 v9, v47
	ds_write_b16 v9, v65 offset:32
	ds_write_b16 v10, v48
	ds_write_b16 v10, v66 offset:32
	s_waitcnt lgkmcnt(0)
	s_barrier
	buffer_gl0_inv
	ds_read_u16 v51, v28
	ds_read_u16 v42, v29
	ds_read_u16 v41, v19 offset:3136
	ds_read_u16 v47, v19 offset:3360
	ds_read_u16 v34, v24
	ds_read_u16 v33, v25
	;; [unrolled: 1-line block ×3, first 2 shown]
	ds_read_u16 v50, v19 offset:2016
	ds_read_u16 v44, v19 offset:2240
	;; [unrolled: 1-line block ×3, first 2 shown]
	ds_read_u16 v48, v27
	ds_read_u16 v35, v26
	ds_read_u16 v52, v19 offset:2912
	ds_read_u16 v49, v19 offset:2688
	;; [unrolled: 1-line block ×3, first 2 shown]
	ds_read_u16 v37, v20
	ds_read_u16 v39, v21
	ds_read_u16 v46, v19 offset:3808
	s_waitcnt lgkmcnt(0)
	s_barrier
	buffer_gl0_inv
	ds_write_b16 v0, v54
	ds_write_b16 v0, v60 offset:32
	ds_write_b16 v1, v56
	ds_write_b16 v1, v72 offset:32
	;; [unrolled: 2-line block ×9, first 2 shown]
	s_waitcnt lgkmcnt(0)
	s_barrier
	buffer_gl0_inv
	global_load_dwordx2 v[8:9], v11, s[8:9] offset:120
	v_lshlrev_b32_e32 v0, 3, v40
	v_lshlrev_b32_e32 v2, 3, v38
	s_clause 0x2
	global_load_dwordx2 v[6:7], v53, s[8:9] offset:120
	global_load_dwordx2 v[0:1], v0, s[8:9] offset:120
	;; [unrolled: 1-line block ×3, first 2 shown]
	v_add_nc_u32_e32 v10, 0xffffffa0, v12
	v_and_b32_e32 v59, 0xff, v15
	v_lshrrev_b32_e32 v53, 5, v15
	v_lshrrev_b32_e32 v54, 5, v18
	;; [unrolled: 1-line block ×6, first 2 shown]
	v_cndmask_b32_e64 v10, v10, v12, s0
	v_mul_lo_u16 v59, 0xab, v59
	v_mul_lo_u32 v53, 0x60, v53
	v_mul_lo_u32 v54, 0x60, v54
	;; [unrolled: 1-line block ×5, first 2 shown]
	v_mov_b32_e32 v11, 0
	v_mul_u32_u24_e32 v57, 0x60, v57
	v_lshlrev_b32_e32 v10, 1, v10
	v_lshrrev_b16 v59, 14, v59
	v_or_b32_e32 v53, v53, v31
	v_or_b32_e32 v54, v54, v32
	;; [unrolled: 1-line block ×6, first 2 shown]
	v_lshlrev_b64 v[31:32], 2, v[10:11]
	v_mul_lo_u16 v11, 0x60, v59
	v_lshl_add_u32 v56, v57, 1, v30
	v_lshl_add_u32 v53, v53, 1, v30
	;; [unrolled: 1-line block ×6, first 2 shown]
	v_sub_nc_u16 v65, v15, v11
	ds_read_u16 v11, v28
	ds_read_u16 v30, v19 offset:2912
	ds_read_u16 v67, v19 offset:2016
	;; [unrolled: 1-line block ×4, first 2 shown]
	ds_read_u16 v70, v27
	ds_read_u16 v71, v29
	ds_read_u16 v72, v19 offset:2240
	ds_read_u16 v73, v19 offset:2688
	;; [unrolled: 1-line block ×3, first 2 shown]
	ds_read_u16 v75, v24
	ds_read_u16 v76, v26
	;; [unrolled: 1-line block ×3, first 2 shown]
	ds_read_u16 v78, v19 offset:3584
	ds_read_u16 v79, v19 offset:3808
	ds_read_u16 v80, v22
	ds_read_u16 v81, v20
	;; [unrolled: 1-line block ×3, first 2 shown]
	v_mov_b32_e32 v60, 0xaaab
	s_waitcnt vmcnt(0) lgkmcnt(0)
	s_barrier
	buffer_gl0_inv
	v_mov_b32_e32 v61, 3
	v_mul_u32_u24_sdwa v62, v13, v60 dst_sel:DWORD dst_unused:UNUSED_PAD src0_sel:WORD_0 src1_sel:DWORD
	v_mul_u32_u24_sdwa v63, v18, v60 dst_sel:DWORD dst_unused:UNUSED_PAD src0_sel:WORD_0 src1_sel:DWORD
	;; [unrolled: 1-line block ×4, first 2 shown]
	v_add_co_u32 v31, s0, s8, v31
	v_lshrrev_b32_e32 v62, 22, v62
	v_lshrrev_b32_e32 v63, 22, v63
	;; [unrolled: 1-line block ×4, first 2 shown]
	v_add_co_ci_u32_e64 v32, s0, s9, v32, s0
	v_mul_lo_u16 v57, 0x60, v62
	v_mul_lo_u16 v58, 0x60, v63
	v_lshlrev_b32_sdwa v66, v61, v65 dst_sel:DWORD dst_unused:UNUSED_PAD src0_sel:DWORD src1_sel:BYTE_0
	v_cmp_lt_u32_e64 s0, 0x5f, v12
	v_sub_nc_u16 v57, v13, v57
	v_mul_f16_sdwa v83, v11, v8 dst_sel:DWORD dst_unused:UNUSED_PAD src0_sel:DWORD src1_sel:WORD_1
	v_mul_f16_sdwa v84, v51, v8 dst_sel:DWORD dst_unused:UNUSED_PAD src0_sel:DWORD src1_sel:WORD_1
	;; [unrolled: 1-line block ×11, first 2 shown]
	v_fmac_f16_e32 v83, v51, v8
	v_mul_f16_sdwa v51, v49, v3 dst_sel:DWORD dst_unused:UNUSED_PAD src0_sel:DWORD src1_sel:WORD_1
	v_fma_f16 v8, v11, v8, -v84
	v_mul_f16_sdwa v11, v71, v2 dst_sel:DWORD dst_unused:UNUSED_PAD src0_sel:DWORD src1_sel:WORD_1
	v_fmac_f16_e32 v85, v52, v9
	v_fma_f16 v9, v30, v9, -v86
	v_mul_f16_sdwa v30, v69, v3 dst_sel:DWORD dst_unused:UNUSED_PAD src0_sel:DWORD src1_sel:WORD_1
	v_fmac_f16_e32 v87, v50, v6
	;; [unrolled: 3-line block ×3, first 2 shown]
	v_mul_f16_sdwa v52, v42, v2 dst_sel:DWORD dst_unused:UNUSED_PAD src0_sel:DWORD src1_sel:WORD_1
	v_mul_f16_sdwa v84, v41, v3 dst_sel:DWORD dst_unused:UNUSED_PAD src0_sel:DWORD src1_sel:WORD_1
	;; [unrolled: 1-line block ×4, first 2 shown]
	v_fmac_f16_e32 v89, v47, v7
	v_mul_f16_sdwa v47, v43, v3 dst_sel:DWORD dst_unused:UNUSED_PAD src0_sel:DWORD src1_sel:WORD_1
	v_fma_f16 v7, v68, v7, -v90
	v_mul_f16_sdwa v68, v74, v0 dst_sel:DWORD dst_unused:UNUSED_PAD src0_sel:DWORD src1_sel:WORD_1
	v_mul_f16_sdwa v88, v45, v0 dst_sel:DWORD dst_unused:UNUSED_PAD src0_sel:DWORD src1_sel:WORD_1
	;; [unrolled: 1-line block ×4, first 2 shown]
	v_fma_f16 v70, v70, v2, -v92
	v_fmac_f16_e32 v93, v49, v3
	v_fma_f16 v49, v73, v3, -v51
	v_fmac_f16_e32 v11, v42, v2
	v_fmac_f16_e32 v30, v41, v3
	;; [unrolled: 1-line block ×3, first 2 shown]
	v_add_f16_e32 v43, v36, v91
	v_fma_f16 v42, v71, v2, -v52
	v_fma_f16 v41, v69, v3, -v84
	v_fmac_f16_e32 v86, v44, v2
	v_fma_f16 v2, v72, v2, -v50
	v_fma_f16 v3, v78, v3, -v47
	v_fmac_f16_e32 v68, v45, v0
	v_fma_f16 v0, v74, v0, -v88
	v_fmac_f16_e32 v90, v46, v1
	v_fma_f16 v1, v79, v1, -v48
	v_add_f16_e32 v44, v91, v93
	v_add_f16_e32 v46, v80, v70
	;; [unrolled: 1-line block ×4, first 2 shown]
	v_sub_f16_e32 v45, v91, v93
	v_sub_f16_e32 v48, v70, v49
	v_add_f16_e32 v52, v11, v30
	v_add_f16_e32 v70, v87, v89
	;; [unrolled: 1-line block ×7, first 2 shown]
	v_sub_f16_e32 v84, v42, v41
	v_sub_f16_e32 v88, v6, v7
	;; [unrolled: 1-line block ×4, first 2 shown]
	v_fmac_f16_e32 v36, -0.5, v44
	v_add_f16_e32 v44, v81, v42
	v_add_f16_e32 v42, v42, v41
	;; [unrolled: 1-line block ×5, first 2 shown]
	v_fmac_f16_e32 v80, -0.5, v47
	v_add_f16_e32 v47, v77, v2
	v_add_f16_e32 v2, v2, v3
	v_fmac_f16_e32 v39, -0.5, v50
	v_add_f16_e32 v50, v76, v0
	v_add_f16_e32 v0, v0, v1
	v_sub_f16_e32 v79, v8, v9
	v_add_f16_e32 v8, v82, v8
	v_add_f16_e32 v69, v37, v11
	;; [unrolled: 1-line block ×5, first 2 shown]
	v_sub_f16_e32 v83, v83, v85
	v_fmac_f16_e32 v37, -0.5, v52
	v_fmac_f16_e32 v34, -0.5, v70
	;; [unrolled: 1-line block ×3, first 2 shown]
	v_sub_f16_e32 v11, v11, v30
	v_sub_f16_e32 v87, v87, v89
	;; [unrolled: 1-line block ×4, first 2 shown]
	v_fmac_f16_e32 v33, -0.5, v72
	v_fmac_f16_e32 v35, -0.5, v74
	v_fmac_f16_e32 v81, -0.5, v42
	v_fmac_f16_e32 v75, -0.5, v6
	v_fmac_f16_e32 v77, -0.5, v2
	v_fmac_f16_e32 v76, -0.5, v0
	v_fmamk_f16 v0, v48, 0xbaee, v36
	v_fmac_f16_e32 v36, 0x3aee, v48
	v_fmamk_f16 v2, v45, 0x3aee, v80
	v_add_f16_e32 v51, v51, v85
	v_fmac_f16_e32 v80, 0xbaee, v45
	v_add_f16_e32 v8, v8, v9
	v_fmamk_f16 v6, v79, 0xbaee, v39
	v_add_f16_e32 v30, v69, v30
	v_add_f16_e32 v52, v71, v89
	;; [unrolled: 1-line block ×6, first 2 shown]
	v_fmac_f16_e32 v39, 0x3aee, v79
	v_fmamk_f16 v41, v84, 0xbaee, v37
	v_fmamk_f16 v42, v88, 0xbaee, v34
	ds_write_b16 v56, v43
	v_fmamk_f16 v43, v83, 0x3aee, v82
	v_add_f16_e32 v7, v49, v7
	v_add_f16_e32 v3, v47, v3
	v_fmac_f16_e32 v37, 0x3aee, v84
	v_fmac_f16_e32 v34, 0x3aee, v88
	v_fmamk_f16 v44, v91, 0xbaee, v33
	v_fmac_f16_e32 v33, 0x3aee, v91
	v_fmamk_f16 v45, v92, 0xbaee, v35
	v_fmac_f16_e32 v35, 0x3aee, v92
	v_fmac_f16_e32 v82, 0xbaee, v83
	v_fmamk_f16 v47, v11, 0x3aee, v81
	v_fmac_f16_e32 v81, 0xbaee, v11
	v_fmamk_f16 v48, v87, 0x3aee, v75
	;; [unrolled: 2-line block ×4, first 2 shown]
	v_fmac_f16_e32 v76, 0xbaee, v68
	ds_write_b16 v56, v0 offset:64
	ds_write_b16 v56, v36 offset:128
	ds_write_b16 v53, v51
	ds_write_b16 v53, v6 offset:64
	ds_write_b16 v53, v39 offset:128
	ds_write_b16 v55, v30
	;; [unrolled: 3-line block ×5, first 2 shown]
	ds_write_b16 v40, v45 offset:64
	ds_write_b16 v40, v35 offset:128
	s_waitcnt lgkmcnt(0)
	s_barrier
	buffer_gl0_inv
	ds_read_u16 v41, v28
	ds_read_u16 v42, v29
	ds_read_u16 v51, v19 offset:3136
	ds_read_u16 v52, v19 offset:3360
	ds_read_u16 v67, v24
	ds_read_u16 v11, v25
	;; [unrolled: 1-line block ×3, first 2 shown]
	ds_read_u16 v69, v19 offset:2016
	ds_read_u16 v70, v19 offset:2240
	;; [unrolled: 1-line block ×3, first 2 shown]
	ds_read_u16 v72, v27
	ds_read_u16 v30, v26
	ds_read_u16 v73, v19 offset:2912
	ds_read_u16 v74, v19 offset:2688
	;; [unrolled: 1-line block ×3, first 2 shown]
	ds_read_u16 v79, v20
	ds_read_u16 v83, v21
	ds_read_u16 v84, v19 offset:3808
	s_waitcnt lgkmcnt(0)
	s_barrier
	buffer_gl0_inv
	ds_write_b16 v56, v46
	ds_write_b16 v56, v2 offset:64
	ds_write_b16 v56, v80 offset:128
	ds_write_b16 v53, v8
	ds_write_b16 v53, v43 offset:64
	ds_write_b16 v53, v82 offset:128
	ds_write_b16 v55, v9
	ds_write_b16 v55, v47 offset:64
	ds_write_b16 v55, v81 offset:128
	ds_write_b16 v54, v7
	ds_write_b16 v54, v48 offset:64
	ds_write_b16 v54, v75 offset:128
	ds_write_b16 v38, v3
	ds_write_b16 v38, v49 offset:64
	ds_write_b16 v38, v77 offset:128
	ds_write_b16 v40, v1
	ds_write_b16 v40, v50 offset:64
	ds_write_b16 v40, v76 offset:128
	v_mul_lo_u16 v0, 0x60, v64
	v_sub_nc_u16 v1, v18, v58
	v_lshlrev_b32_sdwa v2, v61, v57 dst_sel:DWORD dst_unused:UNUSED_PAD src0_sel:DWORD src1_sel:WORD_0
	v_mul_lo_u16 v3, 0x60, v60
	s_waitcnt lgkmcnt(0)
	v_sub_nc_u16 v6, v17, v0
	v_lshlrev_b32_sdwa v0, v61, v1 dst_sel:DWORD dst_unused:UNUSED_PAD src0_sel:DWORD src1_sel:WORD_0
	s_barrier
	buffer_gl0_inv
	s_clause 0x3
	global_load_dwordx2 v[31:32], v[31:32], off offset:376
	global_load_dwordx2 v[33:34], v66, s[8:9] offset:376
	global_load_dwordx2 v[17:18], v2, s[8:9] offset:376
	;; [unrolled: 1-line block ×3, first 2 shown]
	v_sub_nc_u16 v2, v16, v3
	v_lshlrev_b32_sdwa v3, v61, v6 dst_sel:DWORD dst_unused:UNUSED_PAD src0_sel:DWORD src1_sel:WORD_0
	v_and_b32_e32 v7, 0xffff, v59
	v_mad_u32_u24 v8, 0x240, v62, 0
	v_mad_u32_u24 v9, 0x240, v63, 0
	v_lshlrev_b32_sdwa v0, v61, v2 dst_sel:DWORD dst_unused:UNUSED_PAD src0_sel:DWORD src1_sel:WORD_0
	s_clause 0x1
	global_load_dwordx2 v[37:38], v3, s[8:9] offset:376
	global_load_dwordx2 v[39:40], v0, s[8:9] offset:376
	v_cndmask_b32_e64 v0, 0, 0x240, s0
	v_mov_b32_e32 v3, 1
	v_mad_u32_u24 v16, 0x240, v60, 0
	v_mad_u32_u24 v7, 0x240, v7, 0
	v_cmp_gt_u32_e64 s0, 64, v12
	v_add_nc_u32_e32 v0, 0, v0
	v_lshlrev_b32_sdwa v43, v3, v65 dst_sel:DWORD dst_unused:UNUSED_PAD src0_sel:DWORD src1_sel:BYTE_0
	v_lshlrev_b32_sdwa v44, v3, v57 dst_sel:DWORD dst_unused:UNUSED_PAD src0_sel:DWORD src1_sel:WORD_0
	v_lshlrev_b32_sdwa v1, v3, v1 dst_sel:DWORD dst_unused:UNUSED_PAD src0_sel:DWORD src1_sel:WORD_0
	;; [unrolled: 1-line block ×3, first 2 shown]
	v_add3_u32 v0, v0, v10, v23
	v_mad_u32_u24 v10, 0x240, v64, 0
	v_lshlrev_b32_sdwa v46, v3, v2 dst_sel:DWORD dst_unused:UNUSED_PAD src0_sel:DWORD src1_sel:WORD_0
	v_add3_u32 v7, v7, v43, v23
	v_add3_u32 v6, v8, v44, v23
	;; [unrolled: 1-line block ×5, first 2 shown]
	ds_read_u16 v23, v27
	ds_read_u16 v43, v28
	;; [unrolled: 1-line block ×3, first 2 shown]
	ds_read_u16 v53, v19 offset:2688
	ds_read_u16 v54, v19 offset:2912
	;; [unrolled: 1-line block ×4, first 2 shown]
	ds_read_u16 v8, v24
	ds_read_u16 v10, v25
	;; [unrolled: 1-line block ×3, first 2 shown]
	ds_read_u16 v24, v19 offset:2016
	ds_read_u16 v25, v19 offset:2240
	;; [unrolled: 1-line block ×5, first 2 shown]
	ds_read_u16 v9, v20
	ds_read_u16 v28, v21
	;; [unrolled: 1-line block ×3, first 2 shown]
	s_waitcnt vmcnt(0) lgkmcnt(0)
	s_barrier
	buffer_gl0_inv
	v_mul_f16_sdwa v60, v23, v31 dst_sel:DWORD dst_unused:UNUSED_PAD src0_sel:DWORD src1_sel:WORD_1
	v_mul_f16_sdwa v61, v53, v32 dst_sel:DWORD dst_unused:UNUSED_PAD src0_sel:DWORD src1_sel:WORD_1
	;; [unrolled: 1-line block ×11, first 2 shown]
	v_fmac_f16_e32 v60, v72, v31
	v_mul_f16_sdwa v26, v25, v37 dst_sel:DWORD dst_unused:UNUSED_PAD src0_sel:DWORD src1_sel:WORD_1
	v_mul_f16_sdwa v45, v77, v38 dst_sel:DWORD dst_unused:UNUSED_PAD src0_sel:DWORD src1_sel:WORD_1
	;; [unrolled: 1-line block ×4, first 2 shown]
	v_fmac_f16_e32 v61, v74, v32
	v_mul_f16_sdwa v62, v41, v33 dst_sel:DWORD dst_unused:UNUSED_PAD src0_sel:DWORD src1_sel:WORD_1
	v_mul_f16_sdwa v64, v73, v34 dst_sel:DWORD dst_unused:UNUSED_PAD src0_sel:DWORD src1_sel:WORD_1
	;; [unrolled: 1-line block ×7, first 2 shown]
	v_fmac_f16_e32 v55, v41, v33
	v_fmac_f16_e32 v56, v73, v34
	;; [unrolled: 1-line block ×8, first 2 shown]
	v_mul_f16_sdwa v89, v78, v39 dst_sel:DWORD dst_unused:UNUSED_PAD src0_sel:DWORD src1_sel:WORD_1
	v_mul_f16_sdwa v90, v84, v40 dst_sel:DWORD dst_unused:UNUSED_PAD src0_sel:DWORD src1_sel:WORD_1
	v_fmac_f16_e32 v27, v78, v39
	v_fmac_f16_e32 v46, v84, v40
	v_fma_f16 v66, v23, v31, -v58
	v_fma_f16 v63, v53, v32, -v59
	;; [unrolled: 1-line block ×3, first 2 shown]
	v_add_f16_e32 v18, v60, v61
	v_fma_f16 v65, v43, v33, -v62
	v_fma_f16 v64, v54, v34, -v64
	;; [unrolled: 1-line block ×7, first 2 shown]
	v_add_f16_e32 v25, v55, v56
	v_add_f16_e32 v32, v48, v50
	;; [unrolled: 1-line block ×4, first 2 shown]
	v_fma_f16 v54, v76, v39, -v89
	v_fma_f16 v52, v80, v40, -v90
	v_add_f16_e32 v17, v68, v60
	v_add_f16_e32 v40, v27, v46
	v_sub_f16_e32 v23, v66, v63
	v_fmac_f16_e32 v68, -0.5, v18
	v_add_f16_e32 v24, v83, v55
	v_sub_f16_e32 v29, v65, v64
	v_add_f16_e32 v31, v79, v48
	v_sub_f16_e32 v33, v62, v58
	;; [unrolled: 2-line block ×4, first 2 shown]
	v_fmac_f16_e32 v83, -0.5, v25
	v_fmac_f16_e32 v79, -0.5, v32
	;; [unrolled: 1-line block ×4, first 2 shown]
	v_add_f16_e32 v41, v30, v27
	v_sub_f16_e32 v42, v54, v52
	v_fmac_f16_e32 v30, -0.5, v40
	v_add_f16_e32 v25, v17, v61
	v_fmamk_f16 v35, v23, 0xbaee, v68
	v_fmac_f16_e32 v68, 0x3aee, v23
	v_add_f16_e32 v24, v24, v56
	v_add_f16_e32 v31, v31, v50
	;; [unrolled: 1-line block ×4, first 2 shown]
	v_fmamk_f16 v23, v29, 0xbaee, v83
	v_fmac_f16_e32 v83, 0x3aee, v29
	v_fmamk_f16 v29, v33, 0xbaee, v79
	v_fmac_f16_e32 v79, 0x3aee, v33
	;; [unrolled: 2-line block ×3, first 2 shown]
	v_fmamk_f16 v36, v39, 0xbaee, v11
	v_add_f16_e32 v17, v41, v46
	v_fmac_f16_e32 v11, 0x3aee, v39
	v_fmamk_f16 v18, v42, 0xbaee, v30
	v_fmac_f16_e32 v30, 0x3aee, v42
	ds_write_b16 v0, v25
	ds_write_b16 v0, v35 offset:192
	ds_write_b16 v0, v68 offset:384
	ds_write_b16 v7, v24
	ds_write_b16 v7, v23 offset:192
	ds_write_b16 v7, v83 offset:384
	;; [unrolled: 3-line block ×6, first 2 shown]
	s_waitcnt lgkmcnt(0)
	s_barrier
	buffer_gl0_inv
	ds_read_u16 v31, v22
	ds_read_u16 v39, v19 offset:576
	ds_read_u16 v38, v19 offset:2304
	;; [unrolled: 1-line block ×7, first 2 shown]
	ds_read_u16 v29, v21
	ds_read_u16 v37, v19 offset:3680
	ds_read_u16 v40, v19 offset:3456
	;; [unrolled: 1-line block ×5, first 2 shown]
                                        ; implicit-def: $vgpr24
                                        ; implicit-def: $vgpr25
                                        ; implicit-def: $vgpr23
	s_and_saveexec_b32 s1, s0
	s_cbranch_execz .LBB0_15
; %bb.14:
	ds_read_u16 v17, v19 offset:1024
	ds_read_u16 v18, v19 offset:1600
	;; [unrolled: 1-line block ×5, first 2 shown]
	ds_read_u16 v11, v20
	ds_read_u16 v25, v19 offset:3904
.LBB0_15:
	s_or_b32 exec_lo, exec_lo, s1
	v_add_f16_e32 v67, v66, v63
	v_sub_f16_e32 v60, v60, v61
	v_add_f16_e32 v61, v65, v64
	v_add_f16_e32 v66, v44, v66
	;; [unrolled: 1-line block ×3, first 2 shown]
	v_fmac_f16_e32 v44, -0.5, v67
	v_sub_f16_e32 v55, v55, v56
	v_fmac_f16_e32 v28, -0.5, v61
	v_add_f16_e32 v56, v66, v63
	v_add_f16_e32 v63, v62, v58
	v_fmamk_f16 v61, v60, 0x3aee, v44
	v_fmac_f16_e32 v44, 0xbaee, v60
	v_add_f16_e32 v60, v65, v64
	v_fmamk_f16 v64, v55, 0x3aee, v28
	v_add_f16_e32 v62, v9, v62
	v_fmac_f16_e32 v28, 0xbaee, v55
	v_add_f16_e32 v55, v59, v57
	v_fmac_f16_e32 v9, -0.5, v63
	v_sub_f16_e32 v48, v48, v50
	v_add_f16_e32 v50, v62, v58
	v_add_f16_e32 v58, v8, v59
	v_fmac_f16_e32 v8, -0.5, v55
	v_sub_f16_e32 v47, v47, v49
	v_add_f16_e32 v55, v53, v51
	v_fmamk_f16 v49, v48, 0x3aee, v9
	v_fmac_f16_e32 v9, 0xbaee, v48
	v_add_f16_e32 v48, v58, v57
	v_fmamk_f16 v57, v47, 0x3aee, v8
	v_fmac_f16_e32 v8, 0xbaee, v47
	v_add_f16_e32 v47, v54, v52
	v_add_f16_e32 v53, v10, v53
	v_fmac_f16_e32 v10, -0.5, v55
	v_sub_f16_e32 v26, v26, v45
	v_add_f16_e32 v45, v16, v54
	v_fmac_f16_e32 v16, -0.5, v47
	v_sub_f16_e32 v46, v27, v46
	v_add_f16_e32 v47, v53, v51
	v_fmamk_f16 v51, v26, 0x3aee, v10
	v_fmac_f16_e32 v10, 0xbaee, v26
	v_add_f16_e32 v26, v45, v52
	v_fmamk_f16 v27, v46, 0x3aee, v16
	v_fmac_f16_e32 v16, 0xbaee, v46
	s_waitcnt lgkmcnt(0)
	s_barrier
	buffer_gl0_inv
	ds_write_b16 v0, v56
	ds_write_b16 v0, v61 offset:192
	ds_write_b16 v0, v44 offset:384
	ds_write_b16 v7, v60
	ds_write_b16 v7, v64 offset:192
	ds_write_b16 v7, v28 offset:384
	;; [unrolled: 3-line block ×6, first 2 shown]
	s_waitcnt lgkmcnt(0)
	s_barrier
	buffer_gl0_inv
	ds_read_u16 v45, v22
	ds_read_u16 v52, v19 offset:576
	ds_read_u16 v53, v19 offset:2304
	;; [unrolled: 1-line block ×7, first 2 shown]
	ds_read_u16 v44, v21
	ds_read_u16 v51, v19 offset:3680
	ds_read_u16 v56, v19 offset:3456
	;; [unrolled: 1-line block ×5, first 2 shown]
                                        ; implicit-def: $vgpr21
                                        ; implicit-def: $vgpr28
                                        ; implicit-def: $vgpr22
	s_and_saveexec_b32 s1, s0
	s_cbranch_execz .LBB0_17
; %bb.16:
	ds_read_u16 v26, v19 offset:1024
	ds_read_u16 v27, v19 offset:1600
	;; [unrolled: 1-line block ×5, first 2 shown]
	ds_read_u16 v10, v20
	ds_read_u16 v28, v19 offset:3904
.LBB0_17:
	s_or_b32 exec_lo, exec_lo, s1
	s_and_saveexec_b32 s1, vcc_lo
	s_cbranch_execz .LBB0_20
; %bb.18:
	v_mul_i32_i24_e32 v6, 6, v15
	v_mov_b32_e32 v7, 0
	v_mul_u32_u24_e32 v0, 6, v12
	v_add_nc_u32_e32 v88, 0x120, v12
	v_mad_u64_u32 v[64:65], null, s2, v12, 0
	v_lshlrev_b64 v[19:20], 2, v[6:7]
	v_lshlrev_b32_e32 v8, 2, v0
	v_add_nc_u32_e32 v89, 0x240, v12
	v_mad_u64_u32 v[66:67], null, s2, v14, 0
	v_add_nc_u32_e32 v90, 0x360, v12
	v_add_co_u32 v19, vcc_lo, s8, v19
	s_clause 0x1
	global_load_dwordx4 v[0:3], v8, s[8:9] offset:1144
	global_load_dwordx2 v[8:9], v8, s[8:9] offset:1160
	v_add_co_ci_u32_e32 v20, vcc_lo, s9, v20, vcc_lo
	s_clause 0x1
	global_load_dwordx2 v[62:63], v[19:20], off offset:1160
	global_load_dwordx4 v[58:61], v[19:20], off offset:1144
	v_or_b32_e32 v91, 0x480, v12
	v_add_nc_u32_e32 v92, 0x5a0, v12
	v_add_nc_u32_e32 v93, 0x6c0, v12
	v_mad_u64_u32 v[68:69], null, s2, v88, 0
	v_add_nc_u32_e32 v94, 0x190, v12
	v_mad_u64_u32 v[70:71], null, s2, v89, 0
	v_add_co_u32 v15, vcc_lo, s12, v4
	v_mad_u64_u32 v[72:73], null, s2, v90, 0
	v_mad_u64_u32 v[74:75], null, s2, v91, 0
	v_add_co_ci_u32_e32 v19, vcc_lo, s13, v5, vcc_lo
	v_mad_u64_u32 v[76:77], null, s2, v92, 0
	v_mov_b32_e32 v4, v67
	v_mov_b32_e32 v5, v65
	v_mad_u64_u32 v[78:79], null, s2, v93, 0
	v_mad_u64_u32 v[80:81], null, s2, v94, 0
	v_add_nc_u32_e32 v95, 0x2b0, v12
	v_mov_b32_e32 v6, v69
	v_add_nc_u32_e32 v96, 0x3d0, v12
	v_mad_u64_u32 v[86:87], null, s3, v14, v[4:5]
	v_mov_b32_e32 v4, v71
	v_mov_b32_e32 v14, v73
	;; [unrolled: 1-line block ×4, first 2 shown]
	v_mad_u64_u32 v[82:83], null, s2, v95, 0
	v_mad_u64_u32 v[87:88], null, s3, v88, v[6:7]
	v_mov_b32_e32 v6, v79
	v_mad_u64_u32 v[84:85], null, s2, v96, 0
	v_mad_u64_u32 v[88:89], null, s3, v89, v[4:5]
	v_mov_b32_e32 v4, v81
	v_mad_u64_u32 v[89:90], null, s3, v90, v[14:15]
	s_waitcnt lgkmcnt(3)
	v_mad_u64_u32 v[90:91], null, s3, v91, v[20:21]
	v_mad_u64_u32 v[91:92], null, s3, v92, v[65:66]
	;; [unrolled: 1-line block ×5, first 2 shown]
	v_mov_b32_e32 v14, v83
	v_mov_b32_e32 v4, v85
	v_add_nc_u32_e32 v98, 0x4f0, v12
	v_add_nc_u32_e32 v6, 0x610, v12
	v_mov_b32_e32 v67, v86
	v_mad_u64_u32 v[94:95], null, s3, v95, v[14:15]
	v_mad_u64_u32 v[95:96], null, s3, v96, v[4:5]
	;; [unrolled: 1-line block ×3, first 2 shown]
	v_add_nc_u32_e32 v14, 0x730, v12
	v_mov_b32_e32 v65, v5
	v_mov_b32_e32 v69, v87
	;; [unrolled: 1-line block ×4, first 2 shown]
	v_mad_u64_u32 v[86:87], null, s2, v14, 0
	v_mov_b32_e32 v4, v97
	v_mov_b32_e32 v75, v90
	v_mov_b32_e32 v77, v91
	v_mov_b32_e32 v79, v92
	v_mov_b32_e32 v81, v93
	v_mad_u64_u32 v[97:98], null, s3, v98, v[4:5]
	v_mad_u64_u32 v[4:5], null, s2, v6, 0
	v_mov_b32_e32 v83, v94
	v_mov_b32_e32 v85, v95
	v_lshlrev_b64 v[64:65], 2, v[64:65]
	v_lshlrev_b64 v[66:67], 2, v[66:67]
	;; [unrolled: 1-line block ×4, first 2 shown]
	v_mad_u64_u32 v[5:6], null, s3, v6, v[5:6]
	v_mov_b32_e32 v6, v87
	v_add_co_u32 v64, vcc_lo, v15, v64
	v_add_co_ci_u32_e32 v65, vcc_lo, v19, v65, vcc_lo
	v_lshlrev_b64 v[70:71], 2, v[70:71]
	v_add_co_u32 v66, vcc_lo, v15, v66
	v_add_co_ci_u32_e32 v67, vcc_lo, v19, v67, vcc_lo
	v_lshlrev_b64 v[72:73], 2, v[72:73]
	v_add_co_u32 v68, vcc_lo, v15, v68
	v_add_co_ci_u32_e32 v69, vcc_lo, v19, v69, vcc_lo
	v_lshlrev_b64 v[74:75], 2, v[74:75]
	v_add_co_u32 v70, vcc_lo, v15, v70
	v_add_co_ci_u32_e32 v71, vcc_lo, v19, v71, vcc_lo
	v_lshlrev_b64 v[76:77], 2, v[76:77]
	v_add_co_u32 v72, vcc_lo, v15, v72
	v_add_co_ci_u32_e32 v73, vcc_lo, v19, v73, vcc_lo
	v_lshlrev_b64 v[78:79], 2, v[78:79]
	v_add_co_u32 v74, vcc_lo, v15, v74
	v_add_co_ci_u32_e32 v75, vcc_lo, v19, v75, vcc_lo
	v_lshlrev_b64 v[80:81], 2, v[80:81]
	v_add_co_u32 v76, vcc_lo, v15, v76
	v_add_co_ci_u32_e32 v77, vcc_lo, v19, v77, vcc_lo
	v_add_co_u32 v78, vcc_lo, v15, v78
	v_add_co_ci_u32_e32 v79, vcc_lo, v19, v79, vcc_lo
	;; [unrolled: 2-line block ×3, first 2 shown]
	v_lshlrev_b64 v[82:83], 2, v[82:83]
	v_lshlrev_b64 v[84:85], 2, v[84:85]
	v_add_co_u32 v82, vcc_lo, v15, v82
	v_add_co_ci_u32_e32 v83, vcc_lo, v19, v83, vcc_lo
	s_waitcnt vmcnt(3)
	v_mul_f16_sdwa v20, v52, v0 dst_sel:DWORD dst_unused:UNUSED_PAD src0_sel:DWORD src1_sel:WORD_1
	v_mul_f16_sdwa v87, v55, v2 dst_sel:DWORD dst_unused:UNUSED_PAD src0_sel:DWORD src1_sel:WORD_1
	;; [unrolled: 1-line block ×8, first 2 shown]
	s_waitcnt vmcnt(2)
	v_mul_f16_sdwa v96, v56, v9 dst_sel:DWORD dst_unused:UNUSED_PAD src0_sel:DWORD src1_sel:WORD_1
	s_waitcnt lgkmcnt(1)
	v_mul_f16_sdwa v97, v57, v8 dst_sel:DWORD dst_unused:UNUSED_PAD src0_sel:DWORD src1_sel:WORD_1
	v_mul_f16_sdwa v98, v40, v9 dst_sel:DWORD dst_unused:UNUSED_PAD src0_sel:DWORD src1_sel:WORD_1
	v_mul_f16_sdwa v99, v43, v8 dst_sel:DWORD dst_unused:UNUSED_PAD src0_sel:DWORD src1_sel:WORD_1
	v_fmac_f16_e32 v20, v39, v0
	v_fmac_f16_e32 v87, v42, v2
	;; [unrolled: 1-line block ×4, first 2 shown]
	v_fma_f16 v0, v52, v0, -v92
	v_fma_f16 v2, v55, v2, -v93
	;; [unrolled: 1-line block ×4, first 2 shown]
	v_fmac_f16_e32 v96, v40, v9
	v_fmac_f16_e32 v97, v43, v8
	v_fma_f16 v9, v56, v9, -v98
	v_fma_f16 v8, v57, v8, -v99
	s_waitcnt vmcnt(1)
	v_mul_f16_sdwa v38, v51, v63 dst_sel:DWORD dst_unused:UNUSED_PAD src0_sel:DWORD src1_sel:WORD_1
	s_waitcnt vmcnt(0)
	v_mul_f16_sdwa v39, v49, v58 dst_sel:DWORD dst_unused:UNUSED_PAD src0_sel:DWORD src1_sel:WORD_1
	v_mul_f16_sdwa v40, v37, v63 dst_sel:DWORD dst_unused:UNUSED_PAD src0_sel:DWORD src1_sel:WORD_1
	;; [unrolled: 1-line block ×4, first 2 shown]
	s_waitcnt lgkmcnt(0)
	v_mul_f16_sdwa v43, v50, v61 dst_sel:DWORD dst_unused:UNUSED_PAD src0_sel:DWORD src1_sel:WORD_1
	v_mul_f16_sdwa v52, v33, v60 dst_sel:DWORD dst_unused:UNUSED_PAD src0_sel:DWORD src1_sel:WORD_1
	;; [unrolled: 1-line block ×7, first 2 shown]
	v_sub_f16_e32 v92, v20, v96
	v_add_f16_e32 v20, v20, v96
	v_sub_f16_e32 v93, v90, v87
	v_add_f16_e32 v87, v90, v87
	;; [unrolled: 2-line block ×3, first 2 shown]
	v_add_f16_e32 v94, v0, v9
	v_sub_f16_e32 v0, v0, v9
	v_add_f16_e32 v9, v3, v2
	v_sub_f16_e32 v2, v3, v2
	;; [unrolled: 2-line block ×3, first 2 shown]
	v_fmac_f16_e32 v38, v37, v63
	v_fmac_f16_e32 v39, v35, v58
	v_fma_f16 v8, v51, v63, -v40
	v_fma_f16 v35, v49, v58, -v41
	v_fmac_f16_e32 v42, v33, v60
	v_fmac_f16_e32 v43, v36, v61
	v_fma_f16 v33, v47, v60, -v52
	v_fma_f16 v36, v50, v61, -v53
	;; [unrolled: 4-line block ×3, first 2 shown]
	v_sub_f16_e32 v40, v93, v90
	v_add_f16_e32 v41, v93, v90
	v_sub_f16_e32 v46, v94, v9
	v_sub_f16_e32 v47, v9, v3
	v_add_f16_e32 v48, v94, v3
	v_add_f16_e32 v51, v20, v91
	v_sub_f16_e32 v52, v0, v2
	v_sub_f16_e32 v53, v2, v1
	v_add_f16_e32 v2, v2, v1
	v_sub_f16_e32 v56, v90, v92
	v_sub_f16_e32 v1, v1, v0
	;; [unrolled: 1-line block ×3, first 2 shown]
	v_add_f16_e32 v38, v39, v38
	v_sub_f16_e32 v39, v43, v42
	v_add_f16_e32 v42, v43, v42
	v_sub_f16_e32 v43, v55, v54
	v_add_f16_e32 v54, v55, v54
	v_add_f16_e32 v55, v35, v8
	v_sub_f16_e32 v8, v35, v8
	v_add_f16_e32 v35, v36, v33
	v_sub_f16_e32 v33, v36, v33
	;; [unrolled: 2-line block ×3, first 2 shown]
	v_sub_f16_e32 v37, v92, v93
	v_sub_f16_e32 v49, v20, v87
	;; [unrolled: 1-line block ×5, first 2 shown]
	v_mul_f16_e32 v34, 0x3846, v40
	v_add_f16_e32 v40, v92, v41
	v_mul_f16_e32 v41, 0x3a52, v46
	v_mul_f16_e32 v47, 0x2b26, v47
	v_add_f16_e32 v9, v9, v48
	v_add_f16_e32 v51, v87, v51
	v_mul_f16_e32 v53, 0x3846, v53
	v_add_f16_e32 v0, v0, v2
	v_mul_f16_e32 v2, 0xbb00, v56
	v_mul_f16_e32 v58, 0xbb00, v1
	v_sub_f16_e32 v59, v57, v39
	v_sub_f16_e32 v60, v39, v43
	v_add_f16_e32 v39, v39, v43
	v_add_f16_e32 v62, v55, v36
	v_sub_f16_e32 v43, v43, v57
	v_add_f16_e32 v63, v38, v54
	v_sub_f16_e32 v87, v38, v42
	v_sub_f16_e32 v38, v54, v38
	v_sub_f16_e32 v54, v42, v54
	v_add_f16_e32 v90, v33, v32
	v_sub_f16_e32 v91, v8, v33
	v_sub_f16_e32 v33, v33, v32
	v_mul_f16_e32 v48, 0x3a52, v49
	v_mul_f16_e32 v50, 0x2b26, v50
	v_sub_f16_e32 v61, v55, v35
	v_sub_f16_e32 v55, v36, v55
	;; [unrolled: 1-line block ×4, first 2 shown]
	v_fmamk_f16 v46, v46, 0x3a52, v47
	v_fma_f16 v41, v3, 0xb9e0, -v41
	v_fma_f16 v3, v3, 0x39e0, -v47
	;; [unrolled: 1-line block ×3, first 2 shown]
	v_fmamk_f16 v37, v37, 0xb574, v34
	v_fma_f16 v34, v56, 0xbb00, -v34
	v_fma_f16 v47, v52, 0x3574, -v58
	v_fmamk_f16 v52, v52, 0xb574, v53
	v_fma_f16 v1, v1, 0xbb00, -v53
	v_add_f16_e32 v45, v45, v9
	v_add_f16_e32 v31, v31, v51
	;; [unrolled: 1-line block ×5, first 2 shown]
	v_mul_f16_e32 v56, 0x3a52, v87
	v_mul_f16_e32 v54, 0x2b26, v54
	;; [unrolled: 1-line block ×4, first 2 shown]
	v_fmamk_f16 v49, v49, 0x3a52, v50
	v_fma_f16 v48, v20, 0xb9e0, -v48
	v_fma_f16 v20, v20, 0x39e0, -v50
	v_mul_f16_e32 v50, 0x3846, v60
	v_mul_f16_e32 v53, 0x3a52, v61
	;; [unrolled: 1-line block ×4, first 2 shown]
	v_fmac_f16_e32 v52, 0xb70e, v0
	v_fmac_f16_e32 v47, 0xb70e, v0
	;; [unrolled: 1-line block ×3, first 2 shown]
	v_fmamk_f16 v0, v9, 0xbcab, v45
	v_fmamk_f16 v9, v51, 0xbcab, v31
	v_fma_f16 v51, v59, 0x3574, -v57
	v_fmamk_f16 v57, v91, 0xb574, v33
	v_fma_f16 v56, v38, 0xb9e0, -v56
	v_fma_f16 v32, v32, 0xbb00, -v33
	;; [unrolled: 1-line block ×3, first 2 shown]
	v_add_f16_e32 v38, v44, v35
	v_add_f16_e32 v29, v29, v42
	;; [unrolled: 1-line block ×3, first 2 shown]
	v_fmac_f16_e32 v37, 0xb70e, v40
	v_fmac_f16_e32 v2, 0xb70e, v40
	;; [unrolled: 1-line block ×3, first 2 shown]
	v_pack_b32_f16 v31, v31, v45
	v_fmamk_f16 v40, v61, 0x3a52, v36
	v_fma_f16 v45, v55, 0xb9e0, -v53
	v_fma_f16 v36, v55, 0x39e0, -v36
	v_fmamk_f16 v53, v59, 0xb574, v50
	v_fma_f16 v43, v43, 0xbb00, -v50
	v_fmamk_f16 v50, v87, 0x3a52, v54
	v_fma_f16 v55, v91, 0x3574, -v58
	v_add_f16_e32 v44, v46, v0
	v_add_f16_e32 v46, v49, v9
	;; [unrolled: 1-line block ×6, first 2 shown]
	v_fmamk_f16 v9, v35, 0xbcab, v38
	v_fmamk_f16 v20, v42, 0xbcab, v29
	global_store_dword v[64:65], v31, off
	v_fmac_f16_e32 v53, 0xb70e, v39
	v_fmac_f16_e32 v57, 0xb70e, v8
	;; [unrolled: 1-line block ×6, first 2 shown]
	v_pack_b32_f16 v8, v29, v38
	v_add_f16_e32 v29, v37, v44
	v_sub_f16_e32 v31, v46, v52
	v_add_f16_e32 v35, v2, v41
	v_sub_f16_e32 v39, v0, v34
	;; [unrolled: 2-line block ×3, first 2 shown]
	v_sub_f16_e32 v34, v44, v37
	v_add_f16_e32 v37, v52, v46
	v_add_f16_e32 v40, v40, v9
	;; [unrolled: 1-line block ×4, first 2 shown]
	v_sub_f16_e32 v1, v3, v1
	v_add_f16_e32 v3, v47, v48
	v_sub_f16_e32 v38, v48, v47
	v_add_f16_e32 v44, v45, v9
	v_add_f16_e32 v45, v56, v20
	;; [unrolled: 1-line block ×3, first 2 shown]
	v_pack_b32_f16 v33, v37, v34
	v_pack_b32_f16 v29, v31, v29
	v_add_f16_e32 v31, v53, v40
	v_sub_f16_e32 v34, v41, v57
	v_sub_f16_e32 v40, v40, v53
	v_add_f16_e32 v41, v57, v41
	v_pack_b32_f16 v2, v3, v2
	v_pack_b32_f16 v0, v1, v0
	;; [unrolled: 1-line block ×4, first 2 shown]
	global_store_dword v[68:69], v33, off
	global_store_dword v[70:71], v2, off
	;; [unrolled: 1-line block ×4, first 2 shown]
	v_pack_b32_f16 v0, v41, v40
	global_store_dword v[76:77], v3, off
	global_store_dword v[78:79], v29, off
	;; [unrolled: 1-line block ×3, first 2 shown]
	v_add_f16_e32 v9, v36, v9
	global_store_dword v[80:81], v0, off
	v_mad_u64_u32 v[0:1], null, s3, v14, v[6:7]
	v_add_f16_e32 v38, v32, v20
	v_sub_f16_e32 v37, v9, v43
	v_add_f16_e32 v9, v43, v9
	v_sub_f16_e32 v20, v20, v32
	v_add_co_u32 v1, vcc_lo, v15, v84
	v_mov_b32_e32 v87, v0
	v_lshlrev_b64 v[3:4], 2, v[4:5]
	v_sub_f16_e32 v32, v44, v51
	v_add_f16_e32 v39, v55, v45
	v_add_co_ci_u32_e32 v2, vcc_lo, v19, v85, vcc_lo
	v_pack_b32_f16 v14, v20, v9
	v_add_co_u32 v5, vcc_lo, v15, v88
	v_lshlrev_b64 v[8:9], 2, v[86:87]
	v_add_f16_e32 v35, v51, v44
	v_sub_f16_e32 v36, v45, v55
	v_add_co_ci_u32_e32 v6, vcc_lo, v19, v89, vcc_lo
	v_add_co_u32 v3, vcc_lo, v15, v3
	v_pack_b32_f16 v29, v39, v32
	v_add_co_ci_u32_e32 v4, vcc_lo, v19, v4, vcc_lo
	v_pack_b32_f16 v0, v38, v37
	v_add_co_u32 v8, vcc_lo, v15, v8
	v_pack_b32_f16 v20, v36, v35
	v_add_co_ci_u32_e32 v9, vcc_lo, v19, v9, vcc_lo
	v_pack_b32_f16 v31, v34, v31
	global_store_dword v[82:83], v29, off
	global_store_dword v[1:2], v14, off
	;; [unrolled: 1-line block ×5, first 2 shown]
	s_and_b32 exec_lo, exec_lo, s0
	s_cbranch_execz .LBB0_20
; %bb.19:
	v_subrev_nc_u32_e32 v0, 64, v12
	v_add_nc_u32_e32 v39, 0xe0, v12
	v_or_b32_e32 v40, 0x200, v12
	v_or_b32_e32 v42, 0x440, v12
	v_add_nc_u32_e32 v45, 0x7a0, v12
	v_cndmask_b32_e64 v0, v0, v13, s0
	v_add_nc_u32_e32 v41, 0x320, v12
	v_mad_u64_u32 v[8:9], null, s2, v40, 0
	v_mad_u64_u32 v[31:32], null, s2, v42, 0
	v_mul_i32_i24_e32 v6, 6, v0
	v_mad_u64_u32 v[37:38], null, s2, v45, 0
	v_add_nc_u32_e32 v43, 0x560, v12
	v_or_b32_e32 v44, 0x680, v12
	v_lshlrev_b64 v[0:1], 2, v[6:7]
	v_mad_u64_u32 v[6:7], null, s2, v39, 0
	v_mad_u64_u32 v[12:13], null, s2, v41, 0
	;; [unrolled: 1-line block ×3, first 2 shown]
	v_add_co_u32 v4, vcc_lo, s8, v0
	v_add_co_ci_u32_e32 v5, vcc_lo, s9, v1, vcc_lo
	v_mov_b32_e32 v14, v32
	s_clause 0x1
	global_load_dwordx4 v[0:3], v[4:5], off offset:1144
	global_load_dwordx2 v[4:5], v[4:5], off offset:1160
	v_mov_b32_e32 v32, v38
	v_mad_u64_u32 v[38:39], null, s3, v39, v[7:8]
	v_mad_u64_u32 v[35:36], null, s2, v44, 0
	;; [unrolled: 1-line block ×4, first 2 shown]
	v_mov_b32_e32 v20, v34
	v_mov_b32_e32 v7, v38
	v_mad_u64_u32 v[41:42], null, s3, v42, v[14:15]
	v_mov_b32_e32 v29, v36
	v_mov_b32_e32 v9, v39
	v_mad_u64_u32 v[42:43], null, s3, v43, v[20:21]
	v_lshlrev_b64 v[6:7], 2, v[6:7]
	v_mov_b32_e32 v13, v40
	v_mad_u64_u32 v[43:44], null, s3, v44, v[29:30]
	v_lshlrev_b64 v[8:9], 2, v[8:9]
	v_mad_u64_u32 v[44:45], null, s3, v45, v[32:33]
	v_mov_b32_e32 v32, v41
	v_lshlrev_b64 v[12:13], 2, v[12:13]
	v_add_co_u32 v6, vcc_lo, v15, v6
	v_mov_b32_e32 v34, v42
	v_add_co_ci_u32_e32 v7, vcc_lo, v19, v7, vcc_lo
	v_lshlrev_b64 v[31:32], 2, v[31:32]
	v_add_co_u32 v8, vcc_lo, v15, v8
	v_mov_b32_e32 v36, v43
	v_add_co_ci_u32_e32 v9, vcc_lo, v19, v9, vcc_lo
	;; [unrolled: 4-line block ×3, first 2 shown]
	v_lshlrev_b64 v[35:36], 2, v[35:36]
	v_add_co_u32 v31, vcc_lo, v15, v31
	v_add_co_ci_u32_e32 v32, vcc_lo, v19, v32, vcc_lo
	v_lshlrev_b64 v[37:38], 2, v[37:38]
	v_add_co_u32 v33, vcc_lo, v15, v33
	v_add_co_ci_u32_e32 v34, vcc_lo, v19, v34, vcc_lo
	v_add_co_u32 v35, vcc_lo, v15, v35
	v_add_co_ci_u32_e32 v36, vcc_lo, v19, v36, vcc_lo
	;; [unrolled: 2-line block ×3, first 2 shown]
	s_waitcnt vmcnt(1)
	v_mul_f16_sdwa v19, v26, v0 dst_sel:DWORD dst_unused:UNUSED_PAD src0_sel:DWORD src1_sel:WORD_1
	v_mul_f16_sdwa v20, v17, v0 dst_sel:DWORD dst_unused:UNUSED_PAD src0_sel:DWORD src1_sel:WORD_1
	;; [unrolled: 1-line block ×4, first 2 shown]
	s_waitcnt vmcnt(0)
	v_mul_f16_sdwa v42, v22, v4 dst_sel:DWORD dst_unused:UNUSED_PAD src0_sel:DWORD src1_sel:WORD_1
	v_mul_f16_sdwa v43, v23, v4 dst_sel:DWORD dst_unused:UNUSED_PAD src0_sel:DWORD src1_sel:WORD_1
	;; [unrolled: 1-line block ×8, first 2 shown]
	v_fmac_f16_e32 v19, v17, v0
	v_fma_f16 v0, v26, v0, -v20
	v_fmac_f16_e32 v29, v18, v1
	v_fma_f16 v1, v27, v1, -v37
	;; [unrolled: 2-line block ×6, first 2 shown]
	v_add_f16_e32 v16, v19, v44
	v_add_f16_e32 v17, v0, v5
	v_sub_f16_e32 v18, v19, v44
	v_sub_f16_e32 v0, v0, v5
	v_add_f16_e32 v5, v29, v42
	v_add_f16_e32 v19, v1, v4
	v_sub_f16_e32 v20, v29, v42
	v_sub_f16_e32 v1, v1, v4
	;; [unrolled: 4-line block ×4, first 2 shown]
	v_sub_f16_e32 v16, v16, v4
	v_sub_f16_e32 v17, v17, v21
	;; [unrolled: 1-line block ×4, first 2 shown]
	v_add_f16_e32 v26, v22, v20
	v_add_f16_e32 v27, v2, v1
	v_sub_f16_e32 v28, v22, v20
	v_sub_f16_e32 v29, v2, v1
	;; [unrolled: 1-line block ×3, first 2 shown]
	v_add_f16_e32 v3, v4, v3
	v_add_f16_e32 v4, v21, v23
	v_sub_f16_e32 v20, v20, v18
	v_sub_f16_e32 v22, v18, v22
	;; [unrolled: 1-line block ×3, first 2 shown]
	v_add_f16_e32 v18, v26, v18
	v_add_f16_e32 v0, v27, v0
	v_mul_f16_e32 v16, 0x3a52, v16
	v_mul_f16_e32 v17, 0x3a52, v17
	;; [unrolled: 1-line block ×7, first 2 shown]
	v_add_f16_e32 v11, v11, v3
	v_add_f16_e32 v10, v10, v4
	v_mul_f16_e32 v28, 0xbb00, v20
	v_fmamk_f16 v5, v5, 0x2b26, v16
	v_fmamk_f16 v19, v19, 0x2b26, v17
	v_fma_f16 v21, v24, 0x39e0, -v21
	v_fma_f16 v23, v25, 0x39e0, -v23
	;; [unrolled: 1-line block ×4, first 2 shown]
	v_fmamk_f16 v24, v22, 0xb574, v26
	v_fmamk_f16 v25, v2, 0xb574, v27
	v_fma_f16 v1, v1, 0xbb00, -v27
	v_fma_f16 v2, v2, 0x3574, -v29
	v_fmamk_f16 v3, v3, 0xbcab, v11
	v_fmamk_f16 v4, v4, 0xbcab, v10
	v_fma_f16 v20, v20, 0xbb00, -v26
	v_fma_f16 v22, v22, 0x3574, -v28
	v_fmac_f16_e32 v24, 0xb70e, v18
	v_fmac_f16_e32 v25, 0xb70e, v0
	;; [unrolled: 1-line block ×4, first 2 shown]
	v_pack_b32_f16 v0, v11, v10
	v_add_f16_e32 v5, v5, v3
	v_add_f16_e32 v10, v19, v4
	v_fmac_f16_e32 v20, 0xb70e, v18
	v_fmac_f16_e32 v22, 0xb70e, v18
	v_add_f16_e32 v11, v21, v3
	v_add_f16_e32 v18, v23, v4
	;; [unrolled: 1-line block ×4, first 2 shown]
	global_store_dword v[6:7], v0, off
	v_add_f16_e32 v0, v25, v5
	v_sub_f16_e32 v6, v10, v24
	v_add_f16_e32 v7, v2, v3
	v_sub_f16_e32 v16, v4, v22
	v_sub_f16_e32 v17, v11, v1
	v_add_f16_e32 v19, v20, v18
	v_add_f16_e32 v1, v1, v11
	v_sub_f16_e32 v11, v18, v20
	v_sub_f16_e32 v2, v3, v2
	v_add_f16_e32 v3, v22, v4
	v_sub_f16_e32 v4, v5, v25
	v_add_f16_e32 v5, v24, v10
	v_pack_b32_f16 v0, v0, v6
	v_pack_b32_f16 v6, v7, v16
	;; [unrolled: 1-line block ×6, first 2 shown]
	global_store_dword v[8:9], v0, off
	global_store_dword v[12:13], v6, off
	;; [unrolled: 1-line block ×6, first 2 shown]
.LBB0_20:
	s_endpgm
	.section	.rodata,"a",@progbits
	.p2align	6, 0x0
	.amdhsa_kernel fft_rtc_back_len2016_factors_2_2_2_2_2_3_3_7_wgs_224_tpt_112_halfLds_half_ip_CI_sbrr_dirReg
		.amdhsa_group_segment_fixed_size 0
		.amdhsa_private_segment_fixed_size 0
		.amdhsa_kernarg_size 88
		.amdhsa_user_sgpr_count 6
		.amdhsa_user_sgpr_private_segment_buffer 1
		.amdhsa_user_sgpr_dispatch_ptr 0
		.amdhsa_user_sgpr_queue_ptr 0
		.amdhsa_user_sgpr_kernarg_segment_ptr 1
		.amdhsa_user_sgpr_dispatch_id 0
		.amdhsa_user_sgpr_flat_scratch_init 0
		.amdhsa_user_sgpr_private_segment_size 0
		.amdhsa_wavefront_size32 1
		.amdhsa_uses_dynamic_stack 0
		.amdhsa_system_sgpr_private_segment_wavefront_offset 0
		.amdhsa_system_sgpr_workgroup_id_x 1
		.amdhsa_system_sgpr_workgroup_id_y 0
		.amdhsa_system_sgpr_workgroup_id_z 0
		.amdhsa_system_sgpr_workgroup_info 0
		.amdhsa_system_vgpr_workitem_id 0
		.amdhsa_next_free_vgpr 100
		.amdhsa_next_free_sgpr 23
		.amdhsa_reserve_vcc 1
		.amdhsa_reserve_flat_scratch 0
		.amdhsa_float_round_mode_32 0
		.amdhsa_float_round_mode_16_64 0
		.amdhsa_float_denorm_mode_32 3
		.amdhsa_float_denorm_mode_16_64 3
		.amdhsa_dx10_clamp 1
		.amdhsa_ieee_mode 1
		.amdhsa_fp16_overflow 0
		.amdhsa_workgroup_processor_mode 1
		.amdhsa_memory_ordered 1
		.amdhsa_forward_progress 0
		.amdhsa_shared_vgpr_count 0
		.amdhsa_exception_fp_ieee_invalid_op 0
		.amdhsa_exception_fp_denorm_src 0
		.amdhsa_exception_fp_ieee_div_zero 0
		.amdhsa_exception_fp_ieee_overflow 0
		.amdhsa_exception_fp_ieee_underflow 0
		.amdhsa_exception_fp_ieee_inexact 0
		.amdhsa_exception_int_div_zero 0
	.end_amdhsa_kernel
	.text
.Lfunc_end0:
	.size	fft_rtc_back_len2016_factors_2_2_2_2_2_3_3_7_wgs_224_tpt_112_halfLds_half_ip_CI_sbrr_dirReg, .Lfunc_end0-fft_rtc_back_len2016_factors_2_2_2_2_2_3_3_7_wgs_224_tpt_112_halfLds_half_ip_CI_sbrr_dirReg
                                        ; -- End function
	.section	.AMDGPU.csdata,"",@progbits
; Kernel info:
; codeLenInByte = 15948
; NumSgprs: 25
; NumVgprs: 100
; ScratchSize: 0
; MemoryBound: 0
; FloatMode: 240
; IeeeMode: 1
; LDSByteSize: 0 bytes/workgroup (compile time only)
; SGPRBlocks: 3
; VGPRBlocks: 12
; NumSGPRsForWavesPerEU: 25
; NumVGPRsForWavesPerEU: 100
; Occupancy: 9
; WaveLimiterHint : 1
; COMPUTE_PGM_RSRC2:SCRATCH_EN: 0
; COMPUTE_PGM_RSRC2:USER_SGPR: 6
; COMPUTE_PGM_RSRC2:TRAP_HANDLER: 0
; COMPUTE_PGM_RSRC2:TGID_X_EN: 1
; COMPUTE_PGM_RSRC2:TGID_Y_EN: 0
; COMPUTE_PGM_RSRC2:TGID_Z_EN: 0
; COMPUTE_PGM_RSRC2:TIDIG_COMP_CNT: 0
	.text
	.p2alignl 6, 3214868480
	.fill 48, 4, 3214868480
	.type	__hip_cuid_c240dc7023f8af8e,@object ; @__hip_cuid_c240dc7023f8af8e
	.section	.bss,"aw",@nobits
	.globl	__hip_cuid_c240dc7023f8af8e
__hip_cuid_c240dc7023f8af8e:
	.byte	0                               ; 0x0
	.size	__hip_cuid_c240dc7023f8af8e, 1

	.ident	"AMD clang version 19.0.0git (https://github.com/RadeonOpenCompute/llvm-project roc-6.4.0 25133 c7fe45cf4b819c5991fe208aaa96edf142730f1d)"
	.section	".note.GNU-stack","",@progbits
	.addrsig
	.addrsig_sym __hip_cuid_c240dc7023f8af8e
	.amdgpu_metadata
---
amdhsa.kernels:
  - .args:
      - .actual_access:  read_only
        .address_space:  global
        .offset:         0
        .size:           8
        .value_kind:     global_buffer
      - .offset:         8
        .size:           8
        .value_kind:     by_value
      - .actual_access:  read_only
        .address_space:  global
        .offset:         16
        .size:           8
        .value_kind:     global_buffer
      - .actual_access:  read_only
        .address_space:  global
        .offset:         24
        .size:           8
        .value_kind:     global_buffer
      - .offset:         32
        .size:           8
        .value_kind:     by_value
      - .actual_access:  read_only
        .address_space:  global
        .offset:         40
        .size:           8
        .value_kind:     global_buffer
      - .actual_access:  read_only
        .address_space:  global
        .offset:         48
        .size:           8
        .value_kind:     global_buffer
      - .offset:         56
        .size:           4
        .value_kind:     by_value
      - .actual_access:  read_only
        .address_space:  global
        .offset:         64
        .size:           8
        .value_kind:     global_buffer
      - .actual_access:  read_only
        .address_space:  global
        .offset:         72
        .size:           8
        .value_kind:     global_buffer
      - .address_space:  global
        .offset:         80
        .size:           8
        .value_kind:     global_buffer
    .group_segment_fixed_size: 0
    .kernarg_segment_align: 8
    .kernarg_segment_size: 88
    .language:       OpenCL C
    .language_version:
      - 2
      - 0
    .max_flat_workgroup_size: 224
    .name:           fft_rtc_back_len2016_factors_2_2_2_2_2_3_3_7_wgs_224_tpt_112_halfLds_half_ip_CI_sbrr_dirReg
    .private_segment_fixed_size: 0
    .sgpr_count:     25
    .sgpr_spill_count: 0
    .symbol:         fft_rtc_back_len2016_factors_2_2_2_2_2_3_3_7_wgs_224_tpt_112_halfLds_half_ip_CI_sbrr_dirReg.kd
    .uniform_work_group_size: 1
    .uses_dynamic_stack: false
    .vgpr_count:     100
    .vgpr_spill_count: 0
    .wavefront_size: 32
    .workgroup_processor_mode: 1
amdhsa.target:   amdgcn-amd-amdhsa--gfx1030
amdhsa.version:
  - 1
  - 2
...

	.end_amdgpu_metadata
